;; amdgpu-corpus repo=ROCm/rocFFT kind=compiled arch=gfx906 opt=O3
	.text
	.amdgcn_target "amdgcn-amd-amdhsa--gfx906"
	.amdhsa_code_object_version 6
	.protected	bluestein_single_fwd_len595_dim1_half_op_CI_CI ; -- Begin function bluestein_single_fwd_len595_dim1_half_op_CI_CI
	.globl	bluestein_single_fwd_len595_dim1_half_op_CI_CI
	.p2align	8
	.type	bluestein_single_fwd_len595_dim1_half_op_CI_CI,@function
bluestein_single_fwd_len595_dim1_half_op_CI_CI: ; @bluestein_single_fwd_len595_dim1_half_op_CI_CI
; %bb.0:
	v_mul_u32_u24_e32 v1, 0xf10, v0
	s_mov_b64 s[38:39], s[2:3]
	s_load_dwordx4 s[16:19], s[4:5], 0x28
	v_lshrrev_b32_e32 v1, 16, v1
	s_mov_b64 s[36:37], s[0:1]
	v_mad_u64_u32 v[164:165], s[0:1], s6, 3, v[1:2]
	v_mov_b32_e32 v165, 0
	s_add_u32 s36, s36, s7
	s_waitcnt lgkmcnt(0)
	v_cmp_gt_u64_e32 vcc, s[16:17], v[164:165]
	s_addc_u32 s37, s37, 0
	s_and_saveexec_b64 s[0:1], vcc
	s_cbranch_execz .LBB0_10
; %bb.1:
	s_load_dwordx4 s[8:11], s[4:5], 0x18
	s_load_dwordx4 s[0:3], s[4:5], 0x0
	v_mul_lo_u16_e32 v1, 17, v1
	v_sub_u16_e32 v163, v0, v1
	v_or_b32_e32 v142, 0x220, v163
	s_waitcnt lgkmcnt(0)
	s_load_dwordx4 s[12:15], s[8:9], 0x0
	s_mov_b32 s8, 0xaaaaaaab
	v_mul_hi_u32 v8, v164, s8
	s_load_dwordx2 s[4:5], s[4:5], 0x38
                                        ; implicit-def: $vgpr98
                                        ; implicit-def: $vgpr97
                                        ; implicit-def: $vgpr108
                                        ; implicit-def: $vgpr211
                                        ; implicit-def: $vgpr209
                                        ; implicit-def: $vgpr110
                                        ; implicit-def: $vgpr111
                                        ; implicit-def: $vgpr119
                                        ; implicit-def: $vgpr120
                                        ; implicit-def: $vgpr208
                                        ; implicit-def: $vgpr212
                                        ; implicit-def: $vgpr215
                                        ; implicit-def: $vgpr213
                                        ; implicit-def: $vgpr107
                                        ; implicit-def: $vgpr109
                                        ; implicit-def: $vgpr210
                                        ; implicit-def: $vgpr214
                                        ; implicit-def: $vgpr69
                                        ; implicit-def: $vgpr72
                                        ; implicit-def: $vgpr81
                                        ; implicit-def: $vgpr83
                                        ; implicit-def: $vgpr80
                                        ; implicit-def: $vgpr71
                                        ; implicit-def: $vgpr75
	s_waitcnt lgkmcnt(0)
	v_mad_u64_u32 v[0:1], s[6:7], s14, v164, 0
	v_mad_u64_u32 v[2:3], s[6:7], s12, v163, 0
	s_mul_hi_u32 s16, s12, 0xfffff84c
	s_sub_i32 s16, s16, s12
	v_mad_u64_u32 v[4:5], s[6:7], s15, v164, v[1:2]
	s_mul_i32 s15, s13, 0xfffff84c
	s_mul_i32 s14, s12, 0xfffff84c
	v_mad_u64_u32 v[5:6], s[6:7], s13, v163, v[3:4]
	v_mov_b32_e32 v1, v4
	v_lshlrev_b64 v[0:1], 2, v[0:1]
	v_mov_b32_e32 v3, v5
	v_mov_b32_e32 v6, s19
	v_add_co_u32_e32 v0, vcc, s18, v0
	v_lshlrev_b64 v[2:3], 2, v[2:3]
	v_addc_co_u32_e32 v1, vcc, v6, v1, vcc
	v_add_co_u32_e32 v4, vcc, v0, v2
	v_addc_co_u32_e32 v5, vcc, v1, v3, vcc
	s_mul_i32 s6, s13, 0x154
	s_mul_hi_u32 s7, s12, 0x154
	global_load_dword v6, v[4:5], off
	v_lshlrev_b32_e32 v2, 2, v163
	s_add_i32 s6, s7, s6
	s_mul_i32 s7, s12, 0x154
	global_load_dword v165, v2, s[0:1]
	v_mov_b32_e32 v7, s6
	v_add_co_u32_e32 v3, vcc, s7, v4
	v_addc_co_u32_e32 v4, vcc, v5, v7, vcc
	global_load_dword v5, v[3:4], off
	global_load_dword v161, v2, s[0:1] offset:340
	v_add_co_u32_e32 v3, vcc, s7, v3
	v_addc_co_u32_e32 v4, vcc, v4, v7, vcc
	global_load_dword v7, v[3:4], off
	global_load_dword v76, v2, s[0:1] offset:680
	v_mov_b32_e32 v9, s6
	v_add_co_u32_e32 v3, vcc, s7, v3
	v_addc_co_u32_e32 v4, vcc, v4, v9, vcc
	global_load_dword v9, v[3:4], off
	global_load_dword v160, v2, s[0:1] offset:1020
	v_mov_b32_e32 v10, s6
	v_add_co_u32_e32 v3, vcc, s7, v3
	v_addc_co_u32_e32 v4, vcc, v4, v10, vcc
	global_load_dword v10, v[3:4], off
	v_mov_b32_e32 v11, s6
	v_add_co_u32_e32 v3, vcc, s7, v3
	v_addc_co_u32_e32 v4, vcc, v4, v11, vcc
	s_load_dwordx4 s[8:11], s[10:11], 0x0
	global_load_dword v159, v2, s[0:1] offset:1360
	global_load_dword v158, v2, s[0:1] offset:1700
	;; [unrolled: 1-line block ×9, first 2 shown]
	global_load_dword v11, v[3:4], off
	v_mov_b32_e32 v12, s6
	v_add_co_u32_e32 v3, vcc, s7, v3
	v_addc_co_u32_e32 v4, vcc, v4, v12, vcc
	global_load_dword v12, v[3:4], off
	s_add_i32 s15, s16, s15
	v_mov_b32_e32 v14, s15
	v_add_co_u32_e32 v3, vcc, s14, v3
	v_addc_co_u32_e32 v4, vcc, v4, v14, vcc
	global_load_dword v14, v[3:4], off
	v_mov_b32_e32 v13, s6
	v_add_co_u32_e32 v3, vcc, s7, v3
	v_addc_co_u32_e32 v4, vcc, v4, v13, vcc
	v_lshrrev_b32_e32 v8, 1, v8
	global_load_dword v13, v[3:4], off
	v_lshl_add_u32 v8, v8, 1, v8
	v_sub_u32_e32 v8, v164, v8
	v_mul_u32_u24_e32 v8, 0x253, v8
	v_lshlrev_b32_e32 v162, 2, v8
	v_add_u32_e32 v127, v2, v162
	v_add_co_u32_e32 v3, vcc, s7, v3
	v_mov_b32_e32 v20, s6
	s_mov_b32 s18, 0xb846
	s_movk_i32 s19, 0x44
	s_waitcnt vmcnt(21)
	v_lshrrev_b32_e32 v15, 16, v6
	s_waitcnt vmcnt(20)
	v_mul_f16_sdwa v16, v165, v15 dst_sel:DWORD dst_unused:UNUSED_PAD src0_sel:WORD_1 src1_sel:DWORD
	v_fma_f16 v16, v165, v6, v16
	v_mul_f16_sdwa v6, v165, v6 dst_sel:DWORD dst_unused:UNUSED_PAD src0_sel:WORD_1 src1_sel:DWORD
	v_fma_f16 v6, v165, v15, -v6
	v_pack_b32_f16 v6, v16, v6
	s_waitcnt vmcnt(19)
	v_lshrrev_b32_e32 v8, 16, v5
	s_waitcnt vmcnt(18)
	v_mul_f16_sdwa v15, v161, v8 dst_sel:DWORD dst_unused:UNUSED_PAD src0_sel:WORD_1 src1_sel:DWORD
	v_fma_f16 v15, v161, v5, v15
	v_mul_f16_sdwa v5, v161, v5 dst_sel:DWORD dst_unused:UNUSED_PAD src0_sel:WORD_1 src1_sel:DWORD
	v_fma_f16 v5, v161, v8, -v5
	v_pack_b32_f16 v5, v15, v5
	ds_write_b32 v127, v5 offset:340
	s_waitcnt vmcnt(17)
	v_lshrrev_b32_e32 v5, 16, v7
	s_waitcnt vmcnt(16)
	v_mul_f16_sdwa v8, v76, v5 dst_sel:DWORD dst_unused:UNUSED_PAD src0_sel:WORD_1 src1_sel:DWORD
	v_fma_f16 v8, v76, v7, v8
	v_mul_f16_sdwa v7, v76, v7 dst_sel:DWORD dst_unused:UNUSED_PAD src0_sel:WORD_1 src1_sel:DWORD
	v_fma_f16 v5, v76, v5, -v7
	v_pack_b32_f16 v5, v8, v5
	global_load_dword v141, v2, s[0:1] offset:544
	global_load_dword v156, v2, s[0:1] offset:748
	;; [unrolled: 1-line block ×6, first 2 shown]
	ds_write_b32 v127, v5 offset:680
	s_waitcnt vmcnt(21)
	v_lshrrev_b32_e32 v5, 16, v9
	s_waitcnt vmcnt(20)
	v_mul_f16_sdwa v7, v160, v5 dst_sel:DWORD dst_unused:UNUSED_PAD src0_sel:WORD_1 src1_sel:DWORD
	v_mul_f16_sdwa v8, v160, v9 dst_sel:DWORD dst_unused:UNUSED_PAD src0_sel:WORD_1 src1_sel:DWORD
	v_fma_f16 v7, v160, v9, v7
	v_fma_f16 v5, v160, v5, -v8
	v_pack_b32_f16 v5, v7, v5
	ds_write_b32 v127, v5 offset:1020
	s_waitcnt vmcnt(19)
	v_lshrrev_b32_e32 v5, 16, v10
	s_waitcnt vmcnt(18)
	v_mul_f16_sdwa v7, v159, v5 dst_sel:DWORD dst_unused:UNUSED_PAD src0_sel:WORD_1 src1_sel:DWORD
	v_mul_f16_sdwa v9, v159, v10 dst_sel:DWORD dst_unused:UNUSED_PAD src0_sel:WORD_1 src1_sel:DWORD
	v_fma_f16 v7, v159, v10, v7
	v_fma_f16 v5, v159, v5, -v9
	v_pack_b32_f16 v5, v7, v5
	global_load_dword v154, v2, s[0:1] offset:1088
	global_load_dword v147, v2, s[0:1] offset:1156
	;; [unrolled: 1-line block ×7, first 2 shown]
	ds_write_b32 v127, v5 offset:1360
	s_waitcnt vmcnt(16)
	v_lshrrev_b32_e32 v5, 16, v11
	v_mul_f16_sdwa v7, v158, v5 dst_sel:DWORD dst_unused:UNUSED_PAD src0_sel:WORD_1 src1_sel:DWORD
	v_mul_f16_sdwa v9, v158, v11 dst_sel:DWORD dst_unused:UNUSED_PAD src0_sel:WORD_1 src1_sel:DWORD
	v_mov_b32_e32 v8, s6
	v_fma_f16 v7, v158, v11, v7
	v_fma_f16 v5, v158, v5, -v9
	v_addc_co_u32_e32 v4, vcc, v4, v8, vcc
	v_pack_b32_f16 v5, v7, v5
	global_load_dword v8, v[3:4], off
	global_load_dword v150, v2, s[0:1] offset:2108
	global_load_dword v151, v2, s[0:1] offset:1768
	;; [unrolled: 1-line block ×6, first 2 shown]
	ds_write_b32 v127, v5 offset:1700
	s_waitcnt vmcnt(22)
	v_lshrrev_b32_e32 v5, 16, v12
	v_mul_f16_sdwa v7, v155, v5 dst_sel:DWORD dst_unused:UNUSED_PAD src0_sel:WORD_1 src1_sel:DWORD
	v_mul_f16_sdwa v9, v155, v12 dst_sel:DWORD dst_unused:UNUSED_PAD src0_sel:WORD_1 src1_sel:DWORD
	v_fma_f16 v7, v155, v12, v7
	v_fma_f16 v5, v155, v5, -v9
	v_pack_b32_f16 v5, v7, v5
	ds_write_b32 v127, v5 offset:2040
	s_waitcnt vmcnt(21)
	v_lshrrev_b32_e32 v5, 16, v14
	v_mul_f16_sdwa v7, v157, v5 dst_sel:DWORD dst_unused:UNUSED_PAD src0_sel:WORD_1 src1_sel:DWORD
	v_mul_f16_sdwa v9, v157, v14 dst_sel:DWORD dst_unused:UNUSED_PAD src0_sel:WORD_1 src1_sel:DWORD
	v_fma_f16 v7, v157, v14, v7
	v_fma_f16 v5, v157, v5, -v9
	v_pack_b32_f16 v5, v7, v5
	ds_write2_b32 v127, v6, v5 offset1:17
	v_mov_b32_e32 v6, s6
	v_add_co_u32_e32 v3, vcc, s7, v3
	v_addc_co_u32_e32 v4, vcc, v4, v6, vcc
	global_load_dword v9, v[3:4], off
	v_add_co_u32_e32 v3, vcc, s7, v3
	v_addc_co_u32_e32 v4, vcc, v4, v6, vcc
	global_load_dword v10, v[3:4], off
	;; [unrolled: 3-line block ×4, first 2 shown]
	v_mov_b32_e32 v6, s15
	v_add_co_u32_e32 v3, vcc, s14, v3
	v_addc_co_u32_e32 v4, vcc, v4, v6, vcc
	global_load_dword v14, v[3:4], off
	v_mov_b32_e32 v6, s6
	v_add_co_u32_e32 v3, vcc, s7, v3
	v_addc_co_u32_e32 v4, vcc, v4, v6, vcc
	global_load_dword v15, v[3:4], off
	v_mov_b32_e32 v7, s6
	v_add_co_u32_e32 v3, vcc, s7, v3
	s_waitcnt vmcnt(26)
	v_lshrrev_b32_e32 v5, 16, v13
	v_addc_co_u32_e32 v4, vcc, v4, v7, vcc
	v_mul_f16_sdwa v6, v152, v5 dst_sel:DWORD dst_unused:UNUSED_PAD src0_sel:WORD_1 src1_sel:DWORD
	global_load_dword v16, v[3:4], off
	v_mul_f16_sdwa v7, v152, v13 dst_sel:DWORD dst_unused:UNUSED_PAD src0_sel:WORD_1 src1_sel:DWORD
	v_fma_f16 v6, v152, v13, v6
	v_fma_f16 v5, v152, v5, -v7
	v_pack_b32_f16 v13, v6, v5
	v_mov_b32_e32 v5, s6
	v_add_co_u32_e32 v3, vcc, s7, v3
	v_addc_co_u32_e32 v4, vcc, v4, v5, vcc
	global_load_dword v18, v[3:4], off
	v_mad_u64_u32 v[5:6], s[16:17], s12, v142, 0
	v_mov_b32_e32 v7, s6
	v_add_co_u32_e32 v3, vcc, s7, v3
	v_addc_co_u32_e32 v4, vcc, v4, v7, vcc
	global_load_dword v19, v[3:4], off
	v_mad_u64_u32 v[6:7], s[16:17], s13, v142, v[6:7]
	v_add_co_u32_e32 v3, vcc, s7, v3
	v_addc_co_u32_e32 v4, vcc, v4, v20, vcc
	global_load_dword v7, v[3:4], off
	v_lshlrev_b64 v[5:6], 2, v[5:6]
	global_load_dword v143, v2, s[0:1] offset:2176
	v_add_co_u32_e32 v0, vcc, v0, v5
	v_addc_co_u32_e32 v1, vcc, v1, v6, vcc
	global_load_dword v1, v[0:1], off
	s_waitcnt vmcnt(18)
	v_lshrrev_b32_e32 v17, 16, v8
	v_mul_f16_sdwa v0, v156, v17 dst_sel:DWORD dst_unused:UNUSED_PAD src0_sel:WORD_1 src1_sel:DWORD
	v_mul_f16_sdwa v5, v156, v8 dst_sel:DWORD dst_unused:UNUSED_PAD src0_sel:WORD_1 src1_sel:DWORD
	v_fma_f16 v0, v156, v8, v0
	v_fma_f16 v5, v156, v17, -v5
	v_pack_b32_f16 v0, v0, v5
	s_mulk_i32 s13, 0xf9a0
	v_mov_b32_e32 v17, s6
	s_waitcnt vmcnt(11)
	v_lshrrev_b32_e32 v5, 16, v9
	v_mul_f16_sdwa v6, v154, v5 dst_sel:DWORD dst_unused:UNUSED_PAD src0_sel:WORD_1 src1_sel:DWORD
	v_mul_f16_sdwa v8, v154, v9 dst_sel:DWORD dst_unused:UNUSED_PAD src0_sel:WORD_1 src1_sel:DWORD
	v_fma_f16 v6, v154, v9, v6
	v_fma_f16 v5, v154, v5, -v8
	v_pack_b32_f16 v5, v6, v5
	s_waitcnt vmcnt(10)
	v_lshrrev_b32_e32 v6, 16, v10
	v_mul_f16_sdwa v8, v153, v6 dst_sel:DWORD dst_unused:UNUSED_PAD src0_sel:WORD_1 src1_sel:DWORD
	v_mul_f16_sdwa v9, v153, v10 dst_sel:DWORD dst_unused:UNUSED_PAD src0_sel:WORD_1 src1_sel:DWORD
	v_fma_f16 v8, v153, v10, v8
	v_fma_f16 v6, v153, v6, -v9
	v_pack_b32_f16 v6, v8, v6
	;; [unrolled: 7-line block ×6, first 2 shown]
	v_mov_b32_e32 v12, 0xfffff9a0
	v_mad_u64_u32 v[3:4], s[16:17], s12, v12, v[3:4]
	s_sub_i32 s12, s13, s12
	ds_write2_b32 v127, v13, v11 offset0:102 offset1:119
	v_add_u32_e32 v4, s12, v4
	global_load_dword v13, v[3:4], off
	s_waitcnt vmcnt(6)
	v_lshrrev_b32_e32 v11, 16, v16
	v_mul_f16_sdwa v12, v149, v11 dst_sel:DWORD dst_unused:UNUSED_PAD src0_sel:WORD_1 src1_sel:DWORD
	v_mul_f16_sdwa v14, v149, v16 dst_sel:DWORD dst_unused:UNUSED_PAD src0_sel:WORD_1 src1_sel:DWORD
	v_fma_f16 v12, v149, v16, v12
	v_fma_f16 v11, v149, v11, -v14
	v_pack_b32_f16 v11, v12, v11
	ds_write2_b32 v127, v0, v11 offset0:187 offset1:204
	s_waitcnt vmcnt(5)
	v_lshrrev_b32_e32 v0, 16, v18
	v_mul_f16_sdwa v11, v147, v0 dst_sel:DWORD dst_unused:UNUSED_PAD src0_sel:WORD_1 src1_sel:DWORD
	v_mul_f16_sdwa v12, v147, v18 dst_sel:DWORD dst_unused:UNUSED_PAD src0_sel:WORD_1 src1_sel:DWORD
	v_fma_f16 v11, v147, v18, v11
	v_fma_f16 v0, v147, v0, -v12
	v_pack_b32_f16 v11, v11, v0
	v_add_u32_e32 v0, 0x400, v127
	ds_write2_b32 v0, v5, v11 offset0:16 offset1:33
	s_waitcnt vmcnt(4)
	v_lshrrev_b32_e32 v5, 16, v19
	v_mul_f16_sdwa v11, v145, v5 dst_sel:DWORD dst_unused:UNUSED_PAD src0_sel:WORD_1 src1_sel:DWORD
	v_mul_f16_sdwa v12, v145, v19 dst_sel:DWORD dst_unused:UNUSED_PAD src0_sel:WORD_1 src1_sel:DWORD
	v_fma_f16 v11, v145, v19, v11
	v_fma_f16 v5, v145, v5, -v12
	v_pack_b32_f16 v5, v11, v5
	ds_write2_b32 v0, v6, v5 offset0:101 offset1:118
	s_waitcnt vmcnt(3)
	v_lshrrev_b32_e32 v5, 16, v7
	v_mul_f16_sdwa v6, v144, v5 dst_sel:DWORD dst_unused:UNUSED_PAD src0_sel:WORD_1 src1_sel:DWORD
	v_fma_f16 v6, v144, v7, v6
	v_mul_f16_sdwa v7, v144, v7 dst_sel:DWORD dst_unused:UNUSED_PAD src0_sel:WORD_1 src1_sel:DWORD
	v_fma_f16 v5, v144, v5, -v7
	v_pack_b32_f16 v5, v6, v5
	ds_write2_b32 v0, v8, v5 offset0:186 offset1:203
	s_waitcnt vmcnt(1)
	v_lshrrev_b32_e32 v5, 16, v1
	v_mul_f16_sdwa v6, v143, v5 dst_sel:DWORD dst_unused:UNUSED_PAD src0_sel:WORD_1 src1_sel:DWORD
	v_fma_f16 v6, v143, v1, v6
	v_mul_f16_sdwa v1, v143, v1 dst_sel:DWORD dst_unused:UNUSED_PAD src0_sel:WORD_1 src1_sel:DWORD
	v_fma_f16 v1, v143, v5, -v1
	v_pack_b32_f16 v5, v6, v1
	v_add_u32_e32 v1, 0x800, v127
	global_load_dword v136, v2, s[0:1] offset:2244
	global_load_dword v129, v2, s[0:1] offset:2312
	ds_write2_b32 v1, v9, v5 offset0:15 offset1:32
	v_mov_b32_e32 v5, s6
	v_add_co_u32_e32 v3, vcc, s7, v3
	v_addc_co_u32_e32 v4, vcc, v4, v5, vcc
	global_load_dword v5, v[3:4], off
	v_mov_b32_e32 v6, s6
	v_add_co_u32_e32 v3, vcc, s7, v3
	v_addc_co_u32_e32 v4, vcc, v4, v6, vcc
	global_load_dword v6, v[3:4], off
	;; [unrolled: 4-line block ×8, first 2 shown]
	v_add_co_u32_e32 v3, vcc, s7, v3
	v_addc_co_u32_e32 v4, vcc, v4, v17, vcc
	global_load_dword v17, v[3:4], off
	v_mov_b32_e32 v18, s6
	v_add_co_u32_e32 v3, vcc, s7, v3
	v_addc_co_u32_e32 v4, vcc, v4, v18, vcc
	global_load_dword v18, v[3:4], off
	v_mov_b32_e32 v19, s6
	v_add_co_u32_e32 v3, vcc, s7, v3
	s_waitcnt vmcnt(12)
	v_lshrrev_b32_e32 v14, 16, v13
	v_addc_co_u32_e32 v4, vcc, v4, v19, vcc
	v_mul_f16_sdwa v16, v140, v14 dst_sel:DWORD dst_unused:UNUSED_PAD src0_sel:WORD_1 src1_sel:DWORD
	global_load_dword v19, v[3:4], off
	v_fma_f16 v16, v140, v13, v16
	v_mul_f16_sdwa v13, v140, v13 dst_sel:DWORD dst_unused:UNUSED_PAD src0_sel:WORD_1 src1_sel:DWORD
	v_fma_f16 v13, v140, v14, -v13
	v_mov_b32_e32 v14, s6
	v_add_co_u32_e32 v3, vcc, s7, v3
	v_addc_co_u32_e32 v4, vcc, v4, v14, vcc
	global_load_dword v14, v[3:4], off
	v_pack_b32_f16 v13, v16, v13
	v_mov_b32_e32 v16, s6
	v_add_co_u32_e32 v3, vcc, s7, v3
	v_addc_co_u32_e32 v4, vcc, v4, v16, vcc
	global_load_dword v3, v[3:4], off
	ds_write2_b32 v127, v10, v13 offset0:34 offset1:51
	s_movk_i32 s13, 0x3a52
	s_waitcnt vmcnt(12)
	v_lshrrev_b32_e32 v4, 16, v5
	v_mul_f16_sdwa v10, v141, v4 dst_sel:DWORD dst_unused:UNUSED_PAD src0_sel:WORD_1 src1_sel:DWORD
	v_fma_f16 v10, v141, v5, v10
	v_mul_f16_sdwa v5, v141, v5 dst_sel:DWORD dst_unused:UNUSED_PAD src0_sel:WORD_1 src1_sel:DWORD
	v_fma_f16 v4, v141, v4, -v5
	v_pack_b32_f16 v4, v10, v4
	s_waitcnt vmcnt(11)
	v_lshrrev_b32_e32 v5, 16, v6
	v_mul_f16_sdwa v10, v139, v5 dst_sel:DWORD dst_unused:UNUSED_PAD src0_sel:WORD_1 src1_sel:DWORD
	v_fma_f16 v10, v139, v6, v10
	v_mul_f16_sdwa v6, v139, v6 dst_sel:DWORD dst_unused:UNUSED_PAD src0_sel:WORD_1 src1_sel:DWORD
	v_fma_f16 v5, v139, v5, -v6
	v_pack_b32_f16 v5, v10, v5
	;; [unrolled: 7-line block ×7, first 2 shown]
	ds_write_b32 v127, v10 offset:272
	s_waitcnt vmcnt(5)
	v_lshrrev_b32_e32 v10, 16, v15
	v_mul_f16_sdwa v11, v133, v10 dst_sel:DWORD dst_unused:UNUSED_PAD src0_sel:WORD_1 src1_sel:DWORD
	v_mul_f16_sdwa v12, v133, v15 dst_sel:DWORD dst_unused:UNUSED_PAD src0_sel:WORD_1 src1_sel:DWORD
	v_fma_f16 v11, v133, v15, v11
	v_fma_f16 v10, v133, v10, -v12
	v_pack_b32_f16 v10, v11, v10
	ds_write2_b32 v127, v4, v10 offset0:136 offset1:153
	s_waitcnt vmcnt(4)
	v_lshrrev_b32_e32 v4, 16, v17
	v_mul_f16_sdwa v10, v132, v4 dst_sel:DWORD dst_unused:UNUSED_PAD src0_sel:WORD_1 src1_sel:DWORD
	v_mul_f16_sdwa v11, v132, v17 dst_sel:DWORD dst_unused:UNUSED_PAD src0_sel:WORD_1 src1_sel:DWORD
	v_fma_f16 v10, v132, v17, v10
	v_fma_f16 v4, v132, v4, -v11
	v_pack_b32_f16 v4, v10, v4
	ds_write2_b32 v127, v5, v4 offset0:221 offset1:238
	s_waitcnt vmcnt(3)
	v_lshrrev_b32_e32 v4, 16, v18
	v_mul_f16_sdwa v5, v131, v4 dst_sel:DWORD dst_unused:UNUSED_PAD src0_sel:WORD_1 src1_sel:DWORD
	v_mul_f16_sdwa v10, v131, v18 dst_sel:DWORD dst_unused:UNUSED_PAD src0_sel:WORD_1 src1_sel:DWORD
	v_fma_f16 v5, v131, v18, v5
	v_fma_f16 v4, v131, v4, -v10
	v_pack_b32_f16 v4, v5, v4
	ds_write2_b32 v0, v6, v4 offset0:50 offset1:67
	s_waitcnt vmcnt(2)
	v_lshrrev_b32_e32 v4, 16, v19
	v_mul_f16_sdwa v5, v130, v4 dst_sel:DWORD dst_unused:UNUSED_PAD src0_sel:WORD_1 src1_sel:DWORD
	v_mul_f16_sdwa v6, v130, v19 dst_sel:DWORD dst_unused:UNUSED_PAD src0_sel:WORD_1 src1_sel:DWORD
	v_fma_f16 v5, v130, v19, v5
	v_fma_f16 v4, v130, v4, -v6
	v_pack_b32_f16 v4, v5, v4
	ds_write2_b32 v0, v7, v4 offset0:135 offset1:152
	s_waitcnt vmcnt(1)
	v_lshrrev_b32_e32 v4, 16, v14
	v_mul_f16_sdwa v5, v128, v4 dst_sel:DWORD dst_unused:UNUSED_PAD src0_sel:WORD_1 src1_sel:DWORD
	v_mul_f16_sdwa v6, v128, v14 dst_sel:DWORD dst_unused:UNUSED_PAD src0_sel:WORD_1 src1_sel:DWORD
	v_fma_f16 v5, v128, v14, v5
	v_fma_f16 v4, v128, v4, -v6
	v_pack_b32_f16 v4, v5, v4
	ds_write2_b32 v0, v8, v4 offset0:220 offset1:237
	s_waitcnt vmcnt(0)
	v_lshrrev_b32_e32 v4, 16, v3
	v_mul_f16_sdwa v5, v129, v4 dst_sel:DWORD dst_unused:UNUSED_PAD src0_sel:WORD_1 src1_sel:DWORD
	v_fma_f16 v5, v129, v3, v5
	v_mul_f16_sdwa v3, v129, v3 dst_sel:DWORD dst_unused:UNUSED_PAD src0_sel:WORD_1 src1_sel:DWORD
	v_fma_f16 v3, v129, v4, -v3
	v_pack_b32_f16 v3, v5, v3
	ds_write2_b32 v1, v9, v3 offset0:49 offset1:66
	v_mul_lo_u16_e32 v3, 7, v163
	v_add_u32_e32 v15, 0x600, v127
	s_waitcnt lgkmcnt(0)
	; wave barrier
	s_waitcnt lgkmcnt(0)
	v_lshl_add_u32 v99, v3, 2, v162
	ds_read2_b32 v[3:4], v127 offset1:17
	ds_read2_b32 v[5:6], v127 offset0:102 offset1:119
	ds_read2_b32 v[7:8], v127 offset0:170 offset1:187
	;; [unrolled: 1-line block ×9, first 2 shown]
	s_movk_i32 s14, 0x39e0
	s_movk_i32 s15, 0x3b00
	;; [unrolled: 1-line block ×3, first 2 shown]
	s_waitcnt lgkmcnt(2)
	v_pk_add_f16 v23, v18, v15
	s_waitcnt lgkmcnt(1)
	v_pk_add_f16 v24, v7, v20
	;; [unrolled: 2-line block ×3, first 2 shown]
	v_pk_add_f16 v26, v24, v23
	v_pk_add_f16 v15, v18, v15 neg_lo:[0,1] neg_hi:[0,1]
	v_pk_add_f16 v7, v7, v20 neg_lo:[0,1] neg_hi:[0,1]
	v_pk_add_f16 v26, v25, v26
	v_pk_add_f16 v11, v11, v22 neg_lo:[0,1] neg_hi:[0,1]
	v_pk_add_f16 v18, v24, v23 neg_lo:[0,1] neg_hi:[0,1]
	;; [unrolled: 1-line block ×4, first 2 shown]
	s_movk_i32 s16, 0x3cab
	s_movk_i32 s7, 0x2b26
	v_pk_add_f16 v3, v3, v26
	v_pk_add_f16 v22, v11, v7
	v_pk_add_f16 v36, v15, v11 neg_lo:[0,1] neg_hi:[0,1]
	v_pk_mul_f16 v20, v20, s13 op_sel_hi:[1,0]
	v_pk_mul_f16 v18, v18, s14 op_sel_hi:[1,0]
	;; [unrolled: 1-line block ×3, first 2 shown]
	v_pk_add_f16 v40, v25, v24 neg_lo:[0,1] neg_hi:[0,1]
	v_pk_add_f16 v7, v11, v7 neg_lo:[0,1] neg_hi:[0,1]
	s_movk_i32 s6, 0x370e
	v_pk_add_f16 v15, v22, v15
	v_pk_fma_f16 v37, v26, s16, v3 op_sel_hi:[1,0,1] neg_lo:[1,0,0] neg_hi:[1,0,0]
	v_pk_add_f16 v22, v20, v18 op_sel:[1,1] op_sel_hi:[0,0] neg_lo:[1,1] neg_hi:[1,1]
	v_pk_fma_f16 v23, v36, s12, v27 op_sel_hi:[1,0,1] neg_lo:[1,0,1] neg_hi:[1,0,1]
	v_pk_fma_f16 v11, v40, s7, v18 op_sel_hi:[1,0,1] neg_lo:[1,0,0] neg_hi:[1,0,0]
	;; [unrolled: 1-line block ×3, first 2 shown]
	v_pk_add_f16 v22, v22, v37 op_sel:[0,1] op_sel_hi:[1,0]
	v_pk_fma_f16 v23, v15, s6, v23 op_sel_hi:[1,0,1]
	v_pk_add_f16 v11, v11, v37
	v_pk_fma_f16 v18, v15, s6, v18 op_sel_hi:[1,0,1]
	s_mov_b32 s17, 0xffff
	v_pk_add_f16 v38, v22, v23
	v_pk_add_f16 v39, v22, v23 neg_lo:[0,1] neg_hi:[0,1]
	v_pk_add_f16 v41, v11, v18 op_sel:[0,1] op_sel_hi:[1,0] neg_lo:[0,1] neg_hi:[0,1]
	v_pk_add_f16 v11, v11, v18 op_sel:[0,1] op_sel_hi:[1,0]
	v_alignbit_b32 v42, v39, v38, 16
	v_bfi_b32 v43, s17, v41, v11
	v_bfi_b32 v11, s17, v11, v41
	v_alignbit_b32 v38, v38, v39, 16
	ds_read2_b32 v[22:23], v127 offset0:34 offset1:51
	ds_read2_b32 v[24:25], v127 offset0:204 offset1:221
	ds_read_b32 v18, v127 offset:2312
	ds_read2_b32 v[26:27], v0 offset0:118 offset1:135
	ds_read2_b32 v[28:29], v1 offset0:32 offset1:49
	;; [unrolled: 1-line block ×5, first 2 shown]
	s_waitcnt lgkmcnt(0)
	; wave barrier
	s_waitcnt lgkmcnt(0)
	ds_write2_b32 v99, v11, v38 offset0:4 offset1:5
	v_pk_fma_f16 v11, v40, s7, v20 op_sel_hi:[1,0,1]
	v_pk_mul_f16 v20, v36, s12 op_sel_hi:[1,0]
	v_pk_fma_f16 v7, v7, s18, v20 op_sel_hi:[1,0,1]
	v_pk_add_f16 v11, v11, v37
	v_pk_fma_f16 v7, v15, s6, v7 op_sel_hi:[1,0,1]
	v_pk_add_f16 v15, v11, v7 op_sel:[0,1] op_sel_hi:[1,0]
	v_pk_add_f16 v7, v11, v7 op_sel:[0,1] op_sel_hi:[1,0] neg_lo:[0,1] neg_hi:[0,1]
	v_bfi_b32 v11, s17, v15, v7
	ds_write2_b32 v99, v3, v11 offset1:1
	v_pk_add_f16 v3, v5, v16
	v_pk_add_f16 v11, v8, v13
	;; [unrolled: 1-line block ×3, first 2 shown]
	v_pk_add_f16 v8, v8, v13 neg_lo:[0,1] neg_hi:[0,1]
	v_pk_add_f16 v9, v12, v9 neg_lo:[0,1] neg_hi:[0,1]
	v_pk_add_f16 v36, v11, v3
	v_pk_add_f16 v5, v5, v16 neg_lo:[0,1] neg_hi:[0,1]
	v_pk_add_f16 v13, v9, v8
	v_pk_add_f16 v36, v20, v36
	v_pk_add_f16 v12, v11, v3 neg_lo:[0,1] neg_hi:[0,1]
	v_pk_add_f16 v3, v3, v20 neg_lo:[0,1] neg_hi:[0,1]
	v_pk_add_f16 v13, v13, v5
	v_pk_add_f16 v16, v5, v9 neg_lo:[0,1] neg_hi:[0,1]
	v_pk_add_f16 v5, v8, v5 neg_lo:[0,1] neg_hi:[0,1]
	v_pk_add_f16 v4, v4, v36
	v_pk_mul_f16 v3, v3, s13 op_sel_hi:[1,0]
	v_pk_mul_f16 v12, v12, s14 op_sel_hi:[1,0]
	;; [unrolled: 1-line block ×3, first 2 shown]
	v_pk_add_f16 v11, v20, v11 neg_lo:[0,1] neg_hi:[0,1]
	v_pk_add_f16 v8, v9, v8 neg_lo:[0,1] neg_hi:[0,1]
	v_pk_fma_f16 v36, v36, s16, v4 op_sel_hi:[1,0,1] neg_lo:[1,0,0] neg_hi:[1,0,0]
	v_pk_add_f16 v37, v3, v12 op_sel:[1,1] op_sel_hi:[0,0] neg_lo:[1,1] neg_hi:[1,1]
	v_pk_fma_f16 v38, v16, s12, v5 op_sel_hi:[1,0,1] neg_lo:[1,0,1] neg_hi:[1,0,1]
	v_pk_fma_f16 v9, v11, s7, v12 op_sel_hi:[1,0,1] neg_lo:[1,0,0] neg_hi:[1,0,0]
	;; [unrolled: 1-line block ×3, first 2 shown]
	v_pk_add_f16 v37, v37, v36 op_sel:[0,1] op_sel_hi:[1,0]
	v_pk_fma_f16 v38, v13, s6, v38 op_sel_hi:[1,0,1]
	v_pk_add_f16 v9, v9, v36
	v_pk_fma_f16 v5, v13, s6, v5 op_sel_hi:[1,0,1]
	v_bfi_b32 v7, s17, v7, v15
	v_add_co_u32_e32 v95, vcc, 17, v163
	v_pk_add_f16 v39, v37, v38
	v_pk_add_f16 v37, v37, v38 neg_lo:[0,1] neg_hi:[0,1]
	v_pk_add_f16 v12, v9, v5 op_sel:[0,1] op_sel_hi:[1,0] neg_lo:[0,1] neg_hi:[0,1]
	v_pk_add_f16 v5, v9, v5 op_sel:[0,1] op_sel_hi:[1,0]
	ds_write_b32 v99, v7 offset:24
	v_mul_u32_u24_e32 v7, 7, v95
	v_lshl_add_u32 v100, v7, 2, v162
	v_alignbit_b32 v7, v37, v39, 16
	v_bfi_b32 v9, s17, v12, v5
	ds_write2_b32 v99, v42, v43 offset0:2 offset1:3
	ds_write2_b32 v100, v7, v9 offset0:2 offset1:3
	v_pk_mul_f16 v9, v16, s12 op_sel_hi:[1,0]
	v_pk_fma_f16 v3, v11, s7, v3 op_sel_hi:[1,0,1]
	v_pk_fma_f16 v8, v8, s18, v9 op_sel_hi:[1,0,1]
	v_bfi_b32 v5, s17, v5, v12
	v_alignbit_b32 v7, v39, v37, 16
	v_pk_add_f16 v3, v3, v36
	v_pk_fma_f16 v8, v13, s6, v8 op_sel_hi:[1,0,1]
	v_pk_add_f16 v9, v3, v8 op_sel:[0,1] op_sel_hi:[1,0]
	v_pk_add_f16 v3, v3, v8 op_sel:[0,1] op_sel_hi:[1,0] neg_lo:[0,1] neg_hi:[0,1]
	ds_write2_b32 v100, v5, v7 offset0:4 offset1:5
	v_pk_add_f16 v5, v6, v28
	v_pk_add_f16 v7, v24, v14
	;; [unrolled: 1-line block ×3, first 2 shown]
	v_pk_add_f16 v6, v6, v28 neg_lo:[0,1] neg_hi:[0,1]
	v_pk_add_f16 v12, v7, v5
	v_pk_add_f16 v10, v26, v10 neg_lo:[0,1] neg_hi:[0,1]
	v_pk_add_f16 v13, v7, v5 neg_lo:[0,1] neg_hi:[0,1]
	;; [unrolled: 1-line block ×4, first 2 shown]
	v_pk_add_f16 v12, v8, v12
	v_pk_add_f16 v16, v6, v10 neg_lo:[0,1] neg_hi:[0,1]
	v_pk_mul_f16 v5, v5, s13 op_sel_hi:[1,0]
	v_pk_mul_f16 v13, v13, s14 op_sel_hi:[1,0]
	v_pk_add_f16 v7, v8, v7 neg_lo:[0,1] neg_hi:[0,1]
	v_pk_add_f16 v14, v10, v11
	v_pk_add_f16 v20, v22, v12
	v_pk_add_f16 v22, v5, v13 op_sel:[1,1] op_sel_hi:[0,0] neg_lo:[1,1] neg_hi:[1,1]
	v_pk_add_f16 v8, v10, v11 neg_lo:[0,1] neg_hi:[0,1]
	v_pk_fma_f16 v10, v7, s7, v13 op_sel_hi:[1,0,1] neg_lo:[1,0,0] neg_hi:[1,0,0]
	v_pk_fma_f16 v5, v7, s7, v5 op_sel_hi:[1,0,1]
	v_pk_mul_f16 v7, v16, s12 op_sel_hi:[1,0]
	v_pk_add_f16 v14, v14, v6
	v_pk_add_f16 v6, v11, v6 neg_lo:[0,1] neg_hi:[0,1]
	v_pk_fma_f16 v12, v12, s16, v20 op_sel_hi:[1,0,1] neg_lo:[1,0,0] neg_hi:[1,0,0]
	v_pk_fma_f16 v7, v8, s18, v7 op_sel_hi:[1,0,1]
	v_pk_mul_f16 v6, v6, s15 op_sel_hi:[1,0]
	v_pk_add_f16 v5, v5, v12
	v_pk_fma_f16 v7, v14, s6, v7 op_sel_hi:[1,0,1]
	v_pk_fma_f16 v24, v16, s12, v6 op_sel_hi:[1,0,1] neg_lo:[1,0,1] neg_hi:[1,0,1]
	v_pk_fma_f16 v6, v8, s18, v6 op_sel_hi:[1,0,1] neg_lo:[1,0,0] neg_hi:[1,0,0]
	v_pk_add_f16 v8, v5, v7 op_sel:[0,1] op_sel_hi:[1,0]
	v_pk_add_f16 v5, v5, v7 op_sel:[0,1] op_sel_hi:[1,0] neg_lo:[0,1] neg_hi:[0,1]
	v_bfi_b32 v7, s17, v3, v9
	v_bfi_b32 v3, s17, v9, v3
	v_pk_add_f16 v9, v30, v29
	ds_write2_b32 v100, v4, v3 offset1:1
	v_pk_add_f16 v3, v25, v34
	v_pk_add_f16 v22, v22, v12 op_sel:[0,1] op_sel_hi:[1,0]
	v_pk_add_f16 v10, v10, v12
	v_pk_add_f16 v4, v32, v27
	;; [unrolled: 1-line block ×3, first 2 shown]
	v_pk_fma_f16 v24, v14, s6, v24 op_sel_hi:[1,0,1]
	v_pk_fma_f16 v6, v14, s6, v6 op_sel_hi:[1,0,1]
	v_pk_add_f16 v12, v4, v12
	v_add_co_u32_e32 v104, vcc, 34, v163
	v_pk_add_f16 v26, v22, v24
	v_pk_add_f16 v22, v22, v24 neg_lo:[0,1] neg_hi:[0,1]
	v_pk_add_f16 v11, v10, v6 op_sel:[0,1] op_sel_hi:[1,0] neg_lo:[0,1] neg_hi:[0,1]
	v_pk_add_f16 v6, v10, v6 op_sel:[0,1] op_sel_hi:[1,0]
	v_pk_add_f16 v14, v23, v12
	v_mul_u32_u24_e32 v23, 7, v104
	v_bfi_b32 v10, s17, v11, v6
	v_bfi_b32 v6, s17, v6, v11
	v_alignbit_b32 v11, v22, v26, 16
	v_alignbit_b32 v13, v26, v22, 16
	v_pk_add_f16 v22, v25, v34 neg_lo:[0,1] neg_hi:[0,1]
	v_lshl_add_u32 v102, v23, 2, v162
	v_pk_add_f16 v23, v27, v32 neg_lo:[0,1] neg_hi:[0,1]
	v_pk_add_f16 v16, v30, v29 neg_lo:[0,1] neg_hi:[0,1]
	v_pk_add_f16 v24, v3, v9 neg_lo:[0,1] neg_hi:[0,1]
	v_pk_add_f16 v9, v9, v4 neg_lo:[0,1] neg_hi:[0,1]
	ds_write_b32 v100, v7 offset:24
	v_pk_add_f16 v7, v23, v22
	ds_write2_b32 v102, v11, v10 offset0:2 offset1:3
	v_pk_add_f16 v10, v16, v23 neg_lo:[0,1] neg_hi:[0,1]
	v_pk_add_f16 v11, v22, v16 neg_lo:[0,1] neg_hi:[0,1]
	v_pk_add_f16 v7, v7, v16
	v_pk_mul_f16 v9, v9, s13 op_sel_hi:[1,0]
	v_pk_mul_f16 v16, v24, s14 op_sel_hi:[1,0]
	v_pk_add_f16 v3, v4, v3 neg_lo:[0,1] neg_hi:[0,1]
	v_pk_mul_f16 v11, v11, s15 op_sel_hi:[1,0]
	v_pk_add_f16 v24, v9, v16 op_sel:[1,1] op_sel_hi:[0,0] neg_lo:[1,1] neg_hi:[1,1]
	v_pk_add_f16 v4, v23, v22 neg_lo:[0,1] neg_hi:[0,1]
	v_pk_fma_f16 v16, v3, s7, v16 op_sel_hi:[1,0,1] neg_lo:[1,0,0] neg_hi:[1,0,0]
	v_pk_fma_f16 v3, v3, s7, v9 op_sel_hi:[1,0,1]
	v_pk_mul_f16 v9, v10, s12 op_sel_hi:[1,0]
	v_pk_fma_f16 v12, v12, s16, v14 op_sel_hi:[1,0,1] neg_lo:[1,0,0] neg_hi:[1,0,0]
	v_pk_fma_f16 v25, v10, s12, v11 op_sel_hi:[1,0,1] neg_lo:[1,0,1] neg_hi:[1,0,1]
	;; [unrolled: 1-line block ×3, first 2 shown]
	v_pk_fma_f16 v4, v4, s18, v9 op_sel_hi:[1,0,1]
	v_add_co_u32_e32 v106, vcc, 51, v163
	v_add_co_u32_e32 v105, vcc, s19, v163
	v_pk_add_f16 v3, v3, v12
	v_pk_fma_f16 v4, v7, s6, v4 op_sel_hi:[1,0,1]
	v_pk_add_f16 v24, v24, v12 op_sel:[0,1] op_sel_hi:[1,0]
	v_pk_fma_f16 v25, v7, s6, v25 op_sel_hi:[1,0,1]
	v_pk_add_f16 v16, v16, v12
	v_pk_fma_f16 v11, v7, s6, v11 op_sel_hi:[1,0,1]
	v_mul_u32_u24_e32 v10, 7, v106
	v_pk_add_f16 v7, v3, v4 op_sel:[0,1] op_sel_hi:[1,0]
	v_pk_add_f16 v3, v3, v4 op_sel:[0,1] op_sel_hi:[1,0] neg_lo:[0,1] neg_hi:[0,1]
	ds_write2_b32 v102, v6, v13 offset0:4 offset1:5
	v_mul_u32_u24_e32 v6, 7, v105
	v_pk_add_f16 v26, v24, v25
	v_pk_add_f16 v24, v24, v25 neg_lo:[0,1] neg_hi:[0,1]
	v_pk_add_f16 v22, v16, v11 op_sel:[0,1] op_sel_hi:[1,0] neg_lo:[0,1] neg_hi:[0,1]
	v_pk_add_f16 v11, v16, v11 op_sel:[0,1] op_sel_hi:[1,0]
	v_bfi_b32 v9, s17, v5, v8
	v_lshl_add_u32 v103, v10, 2, v162
	v_bfi_b32 v4, s17, v3, v7
	v_lshl_add_u32 v101, v6, 2, v162
	v_pk_add_f16 v6, v31, v18
	v_bfi_b32 v5, s17, v8, v5
	v_pk_add_f16 v8, v21, v35
	v_bfi_b32 v3, s17, v7, v3
	v_bfi_b32 v16, s17, v22, v11
	;; [unrolled: 1-line block ×3, first 2 shown]
	v_alignbit_b32 v22, v24, v26, 16
	v_alignbit_b32 v23, v26, v24, 16
	ds_write2_b32 v102, v20, v5 offset1:1
	v_pk_add_f16 v5, v33, v19
	v_pk_add_f16 v10, v8, v6
	ds_write_b32 v102, v9 offset:24
	ds_write2_b32 v103, v22, v16 offset0:2 offset1:3
	ds_write2_b32 v103, v11, v23 offset0:4 offset1:5
	ds_write2_b32 v103, v14, v3 offset1:1
	ds_write_b32 v103, v4 offset:24
	v_pk_add_f16 v3, v31, v18 neg_lo:[0,1] neg_hi:[0,1]
	v_pk_add_f16 v4, v21, v35 neg_lo:[0,1] neg_hi:[0,1]
	v_pk_add_f16 v10, v5, v10
	v_pk_add_f16 v7, v19, v33 neg_lo:[0,1] neg_hi:[0,1]
	v_pk_add_f16 v9, v8, v6 neg_lo:[0,1] neg_hi:[0,1]
	v_pk_add_f16 v6, v6, v5 neg_lo:[0,1] neg_hi:[0,1]
	v_pk_add_f16 v14, v4, v3 neg_lo:[0,1] neg_hi:[0,1]
	v_pk_add_f16 v12, v17, v10
	v_pk_add_f16 v11, v7, v4
	v_pk_add_f16 v13, v3, v7 neg_lo:[0,1] neg_hi:[0,1]
	v_pk_mul_f16 v6, v6, s13 op_sel_hi:[1,0]
	v_pk_mul_f16 v9, v9, s14 op_sel_hi:[1,0]
	;; [unrolled: 1-line block ×3, first 2 shown]
	v_pk_add_f16 v5, v5, v8 neg_lo:[0,1] neg_hi:[0,1]
	v_pk_add_f16 v4, v7, v4 neg_lo:[0,1] neg_hi:[0,1]
	v_pk_add_f16 v3, v11, v3
	v_pk_mul_f16 v11, v13, s12 op_sel_hi:[1,0]
	v_pk_fma_f16 v10, v10, s16, v12 op_sel_hi:[1,0,1] neg_lo:[1,0,0] neg_hi:[1,0,0]
	v_pk_add_f16 v16, v6, v9 op_sel:[1,1] op_sel_hi:[0,0] neg_lo:[1,1] neg_hi:[1,1]
	v_pk_fma_f16 v13, v13, s12, v14 op_sel_hi:[1,0,1] neg_lo:[1,0,1] neg_hi:[1,0,1]
	v_pk_fma_f16 v7, v5, s7, v9 op_sel_hi:[1,0,1] neg_lo:[1,0,0] neg_hi:[1,0,0]
	;; [unrolled: 1-line block ×3, first 2 shown]
	v_pk_add_f16 v16, v16, v10 op_sel:[0,1] op_sel_hi:[1,0]
	v_pk_fma_f16 v13, v3, s6, v13 op_sel_hi:[1,0,1]
	v_pk_add_f16 v7, v7, v10
	v_pk_fma_f16 v8, v3, s6, v8 op_sel_hi:[1,0,1]
	v_pk_fma_f16 v5, v5, s7, v6 op_sel_hi:[1,0,1]
	;; [unrolled: 1-line block ×3, first 2 shown]
	v_pk_add_f16 v17, v16, v13
	v_pk_add_f16 v13, v16, v13 neg_lo:[0,1] neg_hi:[0,1]
	v_pk_add_f16 v9, v7, v8 op_sel:[0,1] op_sel_hi:[1,0] neg_lo:[0,1] neg_hi:[0,1]
	v_pk_add_f16 v7, v7, v8 op_sel:[0,1] op_sel_hi:[1,0]
	v_pk_add_f16 v5, v5, v10
	v_pk_fma_f16 v3, v3, s6, v4 op_sel_hi:[1,0,1]
	v_alignbit_b32 v16, v13, v17, 16
	v_bfi_b32 v8, s17, v9, v7
	v_pk_add_f16 v4, v5, v3 op_sel:[0,1] op_sel_hi:[1,0]
	v_pk_add_f16 v48, v5, v3 op_sel:[0,1] op_sel_hi:[1,0] neg_lo:[0,1] neg_hi:[0,1]
	ds_write2_b32 v101, v16, v8 offset0:2 offset1:3
	v_bfi_b32 v7, s17, v7, v9
	v_alignbit_b32 v8, v17, v13, 16
	v_bfi_b32 v3, s17, v48, v4
	v_bfi_b32 v5, s17, v4, v48
	ds_write2_b32 v101, v7, v8 offset0:4 offset1:5
	ds_write2_b32 v101, v12, v5 offset1:1
	ds_write_b32 v101, v3 offset:24
	v_add_u32_e32 v3, 0x200, v127
	s_waitcnt lgkmcnt(0)
	; wave barrier
	s_waitcnt lgkmcnt(0)
	ds_read2_b32 v[13:14], v3 offset0:117 offset1:134
	ds_read2_b32 v[11:12], v0 offset0:24 offset1:41
	ds_read2_b32 v[66:67], v0 offset0:59 offset1:76
	ds_read2_b32 v[64:65], v0 offset0:94 offset1:111
	ds_read2_b32 v[62:63], v0 offset0:129 offset1:146
	ds_read2_b32 v[60:61], v0 offset0:164 offset1:181
	ds_read2_b32 v[58:59], v0 offset0:199 offset1:216
	ds_read2_b32 v[56:57], v0 offset0:234 offset1:251
	ds_read2_b32 v[54:55], v1 offset0:13 offset1:30
	ds_read2_b32 v[52:53], v1 offset0:48 offset1:65
	ds_read2_b32 v[50:51], v127 offset1:17
	ds_read2_b32 v[0:1], v127 offset0:35 offset1:52
	ds_read2_b32 v[89:90], v127 offset0:70 offset1:87
	;; [unrolled: 1-line block ×6, first 2 shown]
	v_mov_b32_e32 v15, s1
	v_add_co_u32_e32 v77, vcc, s0, v2
	v_addc_co_u32_e32 v78, vcc, 0, v15, vcc
	v_cmp_eq_u16_e32 vcc, 0, v163
	v_lshrrev_b32_e32 v96, 16, v4
	s_and_saveexec_b64 s[6:7], vcc
	s_cbranch_execz .LBB0_3
; %bb.2:
	v_add_u32_e32 v2, 0x200, v162
	ds_read2_b32 v[48:49], v162 offset0:34 offset1:69
	ds_read2_b32 v[74:75], v162 offset0:104 offset1:139
	;; [unrolled: 1-line block ×4, first 2 shown]
	v_add_u32_e32 v2, 0x400, v162
	ds_read2_b32 v[68:69], v2 offset0:58 offset1:93
	ds_read2_b32 v[72:73], v2 offset0:128 offset1:163
	;; [unrolled: 1-line block ×3, first 2 shown]
	v_add_u32_e32 v2, 0x800, v162
	ds_read2_b32 v[83:84], v2 offset0:12 offset1:47
	ds_read_b32 v119, v162 offset:2376
	s_waitcnt lgkmcnt(8)
	v_lshrrev_b32_e32 v96, 16, v48
	v_lshrrev_b32_e32 v214, 16, v49
	s_waitcnt lgkmcnt(7)
	v_lshrrev_b32_e32 v210, 16, v74
	v_lshrrev_b32_e32 v109, 16, v75
	;; [unrolled: 3-line block ×8, first 2 shown]
	s_waitcnt lgkmcnt(0)
	v_lshrrev_b32_e32 v120, 16, v119
.LBB0_3:
	s_or_b64 exec, exec, s[6:7]
	v_mov_b32_e32 v2, 37
	v_mul_lo_u16_sdwa v3, v163, v2 dst_sel:DWORD dst_unused:UNUSED_PAD src0_sel:BYTE_0 src1_sel:DWORD
	v_sub_u16_sdwa v4, v163, v3 dst_sel:DWORD dst_unused:UNUSED_PAD src0_sel:DWORD src1_sel:BYTE_1
	v_lshrrev_b16_e32 v4, 1, v4
	v_and_b32_e32 v4, 0x7f, v4
	v_add_u16_sdwa v3, v4, v3 dst_sel:DWORD dst_unused:UNUSED_PAD src0_sel:DWORD src1_sel:BYTE_1
	v_lshrrev_b16_e32 v114, 2, v3
	v_mul_lo_u16_e32 v3, 7, v114
	v_sub_u16_e32 v115, v163, v3
	v_mov_b32_e32 v3, 6
	v_lshlrev_b32_sdwa v4, v3, v115 dst_sel:DWORD dst_unused:UNUSED_PAD src0_sel:DWORD src1_sel:BYTE_0
	global_load_dwordx4 v[16:19], v4, s[2:3]
	global_load_dwordx4 v[20:23], v4, s[2:3] offset:16
	global_load_dwordx4 v[24:27], v4, s[2:3] offset:32
	;; [unrolled: 1-line block ×3, first 2 shown]
	v_mul_lo_u16_sdwa v4, v95, v2 dst_sel:DWORD dst_unused:UNUSED_PAD src0_sel:BYTE_0 src1_sel:DWORD
	v_sub_u16_sdwa v32, v95, v4 dst_sel:DWORD dst_unused:UNUSED_PAD src0_sel:DWORD src1_sel:BYTE_1
	v_lshrrev_b16_e32 v32, 1, v32
	v_and_b32_e32 v32, 0x7f, v32
	v_add_u16_sdwa v4, v32, v4 dst_sel:DWORD dst_unused:UNUSED_PAD src0_sel:DWORD src1_sel:BYTE_1
	v_lshrrev_b16_e32 v112, 2, v4
	v_mul_lo_u16_e32 v4, 7, v112
	v_sub_u16_e32 v113, v95, v4
	v_lshlrev_b32_sdwa v3, v3, v113 dst_sel:DWORD dst_unused:UNUSED_PAD src0_sel:DWORD src1_sel:BYTE_0
	global_load_dwordx4 v[32:35], v3, s[2:3]
	global_load_dwordx4 v[36:39], v3, s[2:3] offset:16
	s_waitcnt lgkmcnt(5)
	v_lshrrev_b32_e32 v5, 16, v0
	s_waitcnt lgkmcnt(3)
	v_lshrrev_b32_e32 v15, 16, v9
	v_lshrrev_b32_e32 v45, 16, v66
	;; [unrolled: 1-line block ×3, first 2 shown]
	s_waitcnt lgkmcnt(2)
	v_lshrrev_b32_e32 v40, 16, v7
	s_waitcnt lgkmcnt(1)
	v_lshrrev_b32_e32 v41, 16, v87
	v_lshrrev_b32_e32 v47, 16, v62
	;; [unrolled: 1-line block ×5, first 2 shown]
	s_waitcnt lgkmcnt(0)
	v_lshrrev_b32_e32 v42, 16, v85
	v_lshrrev_b32_e32 v43, 16, v13
	;; [unrolled: 1-line block ×22, first 2 shown]
	s_movk_i32 s15, 0x3b76
	s_movk_i32 s13, 0x39e9
	;; [unrolled: 1-line block ×4, first 2 shown]
	s_mov_b32 s7, 0xb461
	s_mov_b32 s14, 0xb8d2
	;; [unrolled: 1-line block ×4, first 2 shown]
	v_mul_u32_u24_e32 v114, 0x77, v114
	v_add_u32_sdwa v114, v114, v115 dst_sel:DWORD dst_unused:UNUSED_PAD src0_sel:DWORD src1_sel:BYTE_0
	s_waitcnt vmcnt(5)
	v_mul_f16_sdwa v4, v5, v16 dst_sel:DWORD dst_unused:UNUSED_PAD src0_sel:DWORD src1_sel:WORD_1
	v_mul_f16_sdwa v116, v0, v16 dst_sel:DWORD dst_unused:UNUSED_PAD src0_sel:DWORD src1_sel:WORD_1
	;; [unrolled: 1-line block ×3, first 2 shown]
	v_fma_f16 v219, v0, v16, -v4
	s_waitcnt vmcnt(3)
	v_mul_f16_sdwa v0, v66, v24 dst_sel:DWORD dst_unused:UNUSED_PAD src0_sel:DWORD src1_sel:WORD_1
	v_mul_f16_sdwa v124, v7, v19 dst_sel:DWORD dst_unused:UNUSED_PAD src0_sel:DWORD src1_sel:WORD_1
	v_fma_f16 v193, v9, v18, -v121
	v_fma_f16 v121, v45, v24, v0
	v_mul_f16_sdwa v0, v46, v25 dst_sel:DWORD dst_unused:UNUSED_PAD src0_sel:DWORD src1_sel:WORD_1
	v_mul_f16_sdwa v126, v41, v20 dst_sel:DWORD dst_unused:UNUSED_PAD src0_sel:DWORD src1_sel:WORD_1
	v_fma_f16 v192, v40, v19, v124
	v_fma_f16 v124, v64, v25, -v0
	v_mul_f16_sdwa v0, v64, v25 dst_sel:DWORD dst_unused:UNUSED_PAD src0_sel:DWORD src1_sel:WORD_1
	v_mul_f16_sdwa v118, v89, v17 dst_sel:DWORD dst_unused:UNUSED_PAD src0_sel:DWORD src1_sel:WORD_1
	;; [unrolled: 1-line block ×3, first 2 shown]
	v_fma_f16 v187, v87, v20, -v126
	v_fma_f16 v126, v46, v25, v0
	v_mul_f16_sdwa v0, v47, v26 dst_sel:DWORD dst_unused:UNUSED_PAD src0_sel:DWORD src1_sel:WORD_1
	v_fma_f16 v199, v6, v17, v118
	v_fma_f16 v118, v66, v24, -v185
	v_fma_f16 v185, v62, v26, -v0
	v_mul_f16_sdwa v0, v62, v26 dst_sel:DWORD dst_unused:UNUSED_PAD src0_sel:DWORD src1_sel:WORD_1
	v_fma_f16 v186, v47, v26, v0
	v_mul_f16_sdwa v0, v91, v27 dst_sel:DWORD dst_unused:UNUSED_PAD src0_sel:DWORD src1_sel:WORD_1
	v_fma_f16 v189, v60, v27, -v0
	v_mul_f16_sdwa v0, v60, v27 dst_sel:DWORD dst_unused:UNUSED_PAD src0_sel:DWORD src1_sel:WORD_1
	v_fma_f16 v190, v91, v27, v0
	s_waitcnt vmcnt(2)
	v_mul_f16_sdwa v0, v92, v28 dst_sel:DWORD dst_unused:UNUSED_PAD src0_sel:DWORD src1_sel:WORD_1
	v_fma_f16 v195, v58, v28, -v0
	v_mul_f16_sdwa v0, v58, v28 dst_sel:DWORD dst_unused:UNUSED_PAD src0_sel:DWORD src1_sel:WORD_1
	v_fma_f16 v196, v92, v28, v0
	v_mul_lo_u16_sdwa v0, v104, v2 dst_sel:DWORD dst_unused:UNUSED_PAD src0_sel:BYTE_0 src1_sel:DWORD
	v_mul_f16_sdwa v123, v40, v19 dst_sel:DWORD dst_unused:UNUSED_PAD src0_sel:DWORD src1_sel:WORD_1
	v_mul_f16_sdwa v166, v87, v20 dst_sel:DWORD dst_unused:UNUSED_PAD src0_sel:DWORD src1_sel:WORD_1
	;; [unrolled: 1-line block ×4, first 2 shown]
	v_sub_u16_sdwa v2, v104, v0 dst_sel:DWORD dst_unused:UNUSED_PAD src0_sel:DWORD src1_sel:BYTE_1
	v_mul_f16_sdwa v172, v42, v21 dst_sel:DWORD dst_unused:UNUSED_PAD src0_sel:DWORD src1_sel:WORD_1
	v_mul_f16_sdwa v176, v43, v22 dst_sel:DWORD dst_unused:UNUSED_PAD src0_sel:DWORD src1_sel:WORD_1
	v_fma_f16 v191, v7, v19, -v123
	v_fma_f16 v188, v41, v20, v166
	v_fma_f16 v184, v42, v21, v173
	;; [unrolled: 1-line block ×3, first 2 shown]
	global_load_dwordx4 v[40:43], v3, s[2:3] offset:32
	v_lshrrev_b16_e32 v2, 1, v2
	v_and_b32_e32 v2, 0x7f, v2
	v_add_u16_sdwa v0, v2, v0 dst_sel:DWORD dst_unused:UNUSED_PAD src0_sel:DWORD src1_sel:BYTE_1
	v_lshrrev_b16_e32 v0, 2, v0
	v_mul_lo_u16_e32 v0, 7, v0
	v_mul_f16_sdwa v122, v9, v18 dst_sel:DWORD dst_unused:UNUSED_PAD src0_sel:DWORD src1_sel:WORD_1
	v_sub_u16_e32 v0, v104, v0
	s_waitcnt vmcnt(2)
	v_mul_f16_sdwa v9, v1, v32 dst_sel:DWORD dst_unused:UNUSED_PAD src0_sel:DWORD src1_sel:WORD_1
	v_mul_f16_sdwa v180, v44, v23 dst_sel:DWORD dst_unused:UNUSED_PAD src0_sel:DWORD src1_sel:WORD_1
	buffer_store_dword v0, off, s[36:39], 0 ; 4-byte Folded Spill
	v_lshlrev_b16_e32 v0, 4, v0
	v_fma_f16 v204, v167, v32, v9
	v_mul_f16_sdwa v9, v168, v33 dst_sel:DWORD dst_unused:UNUSED_PAD src0_sel:DWORD src1_sel:WORD_1
	v_mul_f16_sdwa v117, v6, v17 dst_sel:DWORD dst_unused:UNUSED_PAD src0_sel:DWORD src1_sel:WORD_1
	;; [unrolled: 1-line block ×3, first 2 shown]
	v_fma_f16 v220, v5, v16, v116
	v_fma_f16 v116, v11, v23, -v180
	v_and_b32_e32 v0, 0xf0, v0
	v_fma_f16 v180, v90, v33, -v9
	v_mul_f16_sdwa v9, v90, v33 dst_sel:DWORD dst_unused:UNUSED_PAD src0_sel:DWORD src1_sel:WORD_1
	v_fma_f16 v197, v89, v17, -v117
	v_fma_f16 v194, v15, v18, v122
	v_fma_f16 v122, v13, v22, -v176
	v_fma_f16 v117, v44, v23, v181
	global_load_dwordx4 v[44:47], v3, s[2:3] offset:48
	v_lshlrev_b32_e32 v13, 2, v0
	v_mul_f16_sdwa v0, v93, v29 dst_sel:DWORD dst_unused:UNUSED_PAD src0_sel:DWORD src1_sel:WORD_1
	v_fma_f16 v181, v168, v33, v9
	v_mul_f16_sdwa v9, v169, v34 dst_sel:DWORD dst_unused:UNUSED_PAD src0_sel:DWORD src1_sel:WORD_1
	v_fma_f16 v200, v56, v29, -v0
	v_mul_f16_sdwa v0, v56, v29 dst_sel:DWORD dst_unused:UNUSED_PAD src0_sel:DWORD src1_sel:WORD_1
	v_fma_f16 v176, v10, v34, -v9
	v_mul_f16_sdwa v9, v10, v34 dst_sel:DWORD dst_unused:UNUSED_PAD src0_sel:DWORD src1_sel:WORD_1
	s_waitcnt vmcnt(3)
	v_mul_f16_sdwa v15, v88, v36 dst_sel:DWORD dst_unused:UNUSED_PAD src0_sel:DWORD src1_sel:WORD_1
	v_fma_f16 v201, v93, v29, v0
	v_mul_f16_sdwa v0, v94, v30 dst_sel:DWORD dst_unused:UNUSED_PAD src0_sel:DWORD src1_sel:WORD_1
	v_fma_f16 v177, v169, v34, v9
	v_fma_f16 v169, v171, v36, v15
	v_mul_f16_sdwa v15, v174, v37 dst_sel:DWORD dst_unused:UNUSED_PAD src0_sel:DWORD src1_sel:WORD_1
	v_fma_f16 v202, v54, v30, -v0
	v_mul_f16_sdwa v0, v54, v30 dst_sel:DWORD dst_unused:UNUSED_PAD src0_sel:DWORD src1_sel:WORD_1
	v_fma_f16 v93, v86, v37, -v15
	v_mul_f16_sdwa v15, v86, v37 dst_sel:DWORD dst_unused:UNUSED_PAD src0_sel:DWORD src1_sel:WORD_1
	v_fma_f16 v207, v94, v30, v0
	v_mul_f16_sdwa v9, v170, v35 dst_sel:DWORD dst_unused:UNUSED_PAD src0_sel:DWORD src1_sel:WORD_1
	v_fma_f16 v94, v174, v37, v15
	v_mul_f16_sdwa v15, v175, v38 dst_sel:DWORD dst_unused:UNUSED_PAD src0_sel:DWORD src1_sel:WORD_1
	v_fma_f16 v183, v85, v21, -v172
	v_mul_f16_sdwa v0, v125, v31 dst_sel:DWORD dst_unused:UNUSED_PAD src0_sel:DWORD src1_sel:WORD_1
	v_fma_f16 v172, v8, v35, -v9
	v_mul_f16_sdwa v8, v8, v35 dst_sel:DWORD dst_unused:UNUSED_PAD src0_sel:DWORD src1_sel:WORD_1
	v_fma_f16 v89, v14, v38, -v15
	v_mul_f16_sdwa v14, v14, v38 dst_sel:DWORD dst_unused:UNUSED_PAD src0_sel:DWORD src1_sel:WORD_1
	v_fma_f16 v221, v52, v31, -v0
	v_mul_f16_sdwa v0, v52, v31 dst_sel:DWORD dst_unused:UNUSED_PAD src0_sel:DWORD src1_sel:WORD_1
	v_fma_f16 v173, v170, v35, v8
	v_mul_f16_sdwa v8, v171, v36 dst_sel:DWORD dst_unused:UNUSED_PAD src0_sel:DWORD src1_sel:WORD_1
	v_fma_f16 v90, v175, v38, v14
	v_mul_f16_sdwa v14, v178, v39 dst_sel:DWORD dst_unused:UNUSED_PAD src0_sel:DWORD src1_sel:WORD_1
	global_load_dwordx4 v[4:7], v13, s[2:3]
	v_fma_f16 v222, v125, v31, v0
	v_mul_f16_sdwa v0, v167, v32 dst_sel:DWORD dst_unused:UNUSED_PAD src0_sel:DWORD src1_sel:WORD_1
	v_fma_f16 v168, v88, v36, -v8
	global_load_dwordx4 v[8:11], v13, s[2:3] offset:32
	v_fma_f16 v85, v12, v39, -v14
	v_mul_f16_sdwa v12, v12, v39 dst_sel:DWORD dst_unused:UNUSED_PAD src0_sel:DWORD src1_sel:WORD_1
	v_fma_f16 v203, v1, v32, -v0
	global_load_dwordx4 v[0:3], v13, s[2:3] offset:16
	v_fma_f16 v86, v178, v39, v12
	global_load_dwordx4 v[12:15], v13, s[2:3] offset:48
	s_waitcnt lgkmcnt(0)
	; wave barrier
	s_waitcnt vmcnt(6)
	v_mul_f16_sdwa v52, v179, v40 dst_sel:DWORD dst_unused:UNUSED_PAD src0_sel:DWORD src1_sel:WORD_1
	v_fma_f16 v87, v67, v40, -v52
	v_mul_f16_sdwa v52, v67, v40 dst_sel:DWORD dst_unused:UNUSED_PAD src0_sel:DWORD src1_sel:WORD_1
	v_fma_f16 v88, v179, v40, v52
	v_mul_f16_sdwa v52, v182, v41 dst_sel:DWORD dst_unused:UNUSED_PAD src0_sel:DWORD src1_sel:WORD_1
	v_fma_f16 v91, v65, v41, -v52
	v_mul_f16_sdwa v52, v65, v41 dst_sel:DWORD dst_unused:UNUSED_PAD src0_sel:DWORD src1_sel:WORD_1
	v_fma_f16 v92, v182, v41, v52
	;; [unrolled: 4-line block ×4, first 2 shown]
	s_waitcnt vmcnt(4)
	v_mul_f16_sdwa v52, v206, v44 dst_sel:DWORD dst_unused:UNUSED_PAD src0_sel:DWORD src1_sel:WORD_1
	v_fma_f16 v174, v59, v44, -v52
	v_mul_f16_sdwa v52, v59, v44 dst_sel:DWORD dst_unused:UNUSED_PAD src0_sel:DWORD src1_sel:WORD_1
	v_fma_f16 v175, v206, v44, v52
	v_mul_f16_sdwa v52, v216, v45 dst_sel:DWORD dst_unused:UNUSED_PAD src0_sel:DWORD src1_sel:WORD_1
	v_fma_f16 v178, v57, v45, -v52
	v_mul_f16_sdwa v52, v57, v45 dst_sel:DWORD dst_unused:UNUSED_PAD src0_sel:DWORD src1_sel:WORD_1
	v_fma_f16 v179, v216, v45, v52
	;; [unrolled: 4-line block ×4, first 2 shown]
	s_waitcnt vmcnt(3)
	v_mul_f16_sdwa v53, v109, v6 dst_sel:DWORD dst_unused:UNUSED_PAD src0_sel:DWORD src1_sel:WORD_1
	v_fma_f16 v60, v75, v6, -v53
	v_mul_f16_sdwa v53, v75, v6 dst_sel:DWORD dst_unused:UNUSED_PAD src0_sel:DWORD src1_sel:WORD_1
	v_mul_f16_sdwa v52, v214, v4 dst_sel:DWORD dst_unused:UNUSED_PAD src0_sel:DWORD src1_sel:WORD_1
	s_waitcnt vmcnt(2)
	v_mul_f16_sdwa v65, v97, v9 dst_sel:DWORD dst_unused:UNUSED_PAD src0_sel:DWORD src1_sel:WORD_1
	v_fma_f16 v75, v72, v9, -v65
	v_mul_f16_sdwa v65, v72, v9 dst_sel:DWORD dst_unused:UNUSED_PAD src0_sel:DWORD src1_sel:WORD_1
	v_mul_f16_sdwa v67, v108, v10 dst_sel:DWORD dst_unused:UNUSED_PAD src0_sel:DWORD src1_sel:WORD_1
	v_fma_f16 v53, v109, v6, v53
	s_waitcnt vmcnt(1)
	v_mul_f16_sdwa v57, v215, v1 dst_sel:DWORD dst_unused:UNUSED_PAD src0_sel:DWORD src1_sel:WORD_1
	s_waitcnt vmcnt(0)
	v_mul_f16_sdwa v72, v110, v13 dst_sel:DWORD dst_unused:UNUSED_PAD src0_sel:DWORD src1_sel:WORD_1
	v_fma_f16 v65, v97, v9, v65
	v_fma_f16 v97, v73, v10, -v67
	v_mul_f16_sdwa v67, v73, v10 dst_sel:DWORD dst_unused:UNUSED_PAD src0_sel:DWORD src1_sel:WORD_1
	v_fma_f16 v109, v83, v13, -v72
	v_mul_f16_sdwa v72, v83, v13 dst_sel:DWORD dst_unused:UNUSED_PAD src0_sel:DWORD src1_sel:WORD_1
	v_mul_f16_sdwa v73, v111, v14 dst_sel:DWORD dst_unused:UNUSED_PAD src0_sel:DWORD src1_sel:WORD_1
	v_fma_f16 v56, v49, v4, -v52
	v_mul_f16_sdwa v52, v210, v5 dst_sel:DWORD dst_unused:UNUSED_PAD src0_sel:DWORD src1_sel:WORD_1
	v_fma_f16 v66, v79, v1, -v57
	v_mul_f16_sdwa v57, v79, v1 dst_sel:DWORD dst_unused:UNUSED_PAD src0_sel:DWORD src1_sel:WORD_1
	v_mul_f16_sdwa v63, v98, v8 dst_sel:DWORD dst_unused:UNUSED_PAD src0_sel:DWORD src1_sel:WORD_1
	v_fma_f16 v72, v110, v13, v72
	v_fma_f16 v110, v84, v14, -v73
	v_mul_f16_sdwa v73, v84, v14 dst_sel:DWORD dst_unused:UNUSED_PAD src0_sel:DWORD src1_sel:WORD_1
	v_mul_f16_sdwa v79, v120, v15 dst_sel:DWORD dst_unused:UNUSED_PAD src0_sel:DWORD src1_sel:WORD_1
	v_fma_f16 v58, v74, v5, -v52
	v_mul_f16_sdwa v52, v74, v5 dst_sel:DWORD dst_unused:UNUSED_PAD src0_sel:DWORD src1_sel:WORD_1
	v_mul_f16_sdwa v54, v107, v7 dst_sel:DWORD dst_unused:UNUSED_PAD src0_sel:DWORD src1_sel:WORD_1
	;; [unrolled: 1-line block ×3, first 2 shown]
	v_fma_f16 v74, v69, v8, -v63
	v_mul_f16_sdwa v63, v69, v8 dst_sel:DWORD dst_unused:UNUSED_PAD src0_sel:DWORD src1_sel:WORD_1
	v_fma_f16 v73, v111, v14, v73
	v_fma_f16 v111, v119, v15, -v79
	v_mul_f16_sdwa v79, v119, v15 dst_sel:DWORD dst_unused:UNUSED_PAD src0_sel:DWORD src1_sel:WORD_1
	v_fma_f16 v62, v70, v7, -v54
	v_mul_f16_sdwa v54, v70, v7 dst_sel:DWORD dst_unused:UNUSED_PAD src0_sel:DWORD src1_sel:WORD_1
	;; [unrolled: 2-line block ×3, first 2 shown]
	v_fma_f16 v63, v98, v8, v63
	v_fma_f16 v98, v120, v15, v79
	v_add_f16_e32 v79, v50, v219
	v_add_f16_sdwa v80, v50, v220 dst_sel:DWORD dst_unused:UNUSED_PAD src0_sel:WORD_1 src1_sel:DWORD
	v_add_f16_e32 v79, v79, v197
	v_add_f16_e32 v80, v80, v199
	v_add_f16_e32 v79, v79, v193
	v_add_f16_e32 v80, v80, v194
	v_add_f16_e32 v79, v79, v191
	v_add_f16_e32 v80, v80, v192
	v_add_f16_e32 v79, v79, v187
	v_add_f16_e32 v80, v80, v188
	v_add_f16_e32 v79, v79, v183
	v_add_f16_e32 v80, v80, v184
	v_add_f16_e32 v79, v79, v122
	v_add_f16_e32 v80, v80, v123
	v_add_f16_e32 v79, v79, v116
	v_add_f16_e32 v80, v80, v117
	v_add_f16_e32 v79, v79, v118
	v_add_f16_e32 v80, v80, v121
	v_add_f16_e32 v79, v79, v124
	v_add_f16_e32 v80, v80, v126
	v_add_f16_e32 v79, v79, v185
	v_add_f16_e32 v80, v80, v186
	v_add_f16_e32 v79, v79, v189
	v_add_f16_e32 v80, v80, v190
	v_mul_f16_sdwa v55, v213, v0 dst_sel:DWORD dst_unused:UNUSED_PAD src0_sel:DWORD src1_sel:WORD_1
	v_mul_f16_sdwa v61, v208, v3 dst_sel:DWORD dst_unused:UNUSED_PAD src0_sel:DWORD src1_sel:WORD_1
	v_add_f16_e32 v79, v79, v195
	v_add_f16_e32 v80, v80, v196
	v_fma_f16 v64, v71, v0, -v55
	v_mul_f16_sdwa v55, v71, v0 dst_sel:DWORD dst_unused:UNUSED_PAD src0_sel:DWORD src1_sel:WORD_1
	v_fma_f16 v71, v68, v3, -v61
	v_mul_f16_sdwa v61, v68, v3 dst_sel:DWORD dst_unused:UNUSED_PAD src0_sel:DWORD src1_sel:WORD_1
	v_mul_f16_sdwa v68, v211, v11 dst_sel:DWORD dst_unused:UNUSED_PAD src0_sel:DWORD src1_sel:WORD_1
	;; [unrolled: 1-line block ×3, first 2 shown]
	v_add_f16_e32 v79, v79, v200
	v_add_f16_e32 v80, v80, v201
	v_mul_f16_sdwa v49, v49, v4 dst_sel:DWORD dst_unused:UNUSED_PAD src0_sel:DWORD src1_sel:WORD_1
	v_fma_f16 v54, v107, v7, v54
	v_fma_f16 v67, v108, v10, v67
	v_fma_f16 v107, v81, v11, -v68
	v_mul_f16_sdwa v68, v81, v11 dst_sel:DWORD dst_unused:UNUSED_PAD src0_sel:DWORD src1_sel:WORD_1
	v_fma_f16 v108, v82, v12, -v69
	v_mul_f16_sdwa v69, v82, v12 dst_sel:DWORD dst_unused:UNUSED_PAD src0_sel:DWORD src1_sel:WORD_1
	v_add_f16_e32 v79, v79, v202
	v_add_f16_e32 v80, v80, v207
	v_sub_f16_e32 v81, v219, v221
	v_sub_f16_e32 v82, v220, v222
	v_fma_f16 v49, v214, v4, v49
	v_fma_f16 v52, v210, v5, v52
	;; [unrolled: 1-line block ×4, first 2 shown]
	v_add_f16_e32 v119, v79, v221
	v_add_f16_e32 v120, v80, v222
	;; [unrolled: 1-line block ×4, first 2 shown]
	v_mul_f16_e32 v83, 0xb5c8, v82
	v_mul_f16_e32 v208, 0xb5c8, v81
	;; [unrolled: 1-line block ×16, first 2 shown]
	v_fma_f16 v55, v213, v0, v55
	v_fma_f16 v57, v215, v1, v57
	;; [unrolled: 1-line block ×4, first 2 shown]
	v_fma_f16 v84, v80, s15, -v83
	v_fma_f16 v209, v79, s15, v208
	v_fma_f16 v83, v80, s15, v83
	v_fma_f16 v208, v79, s15, -v208
	v_fma_f16 v211, v80, s13, -v210
	v_fma_f16 v213, v79, s13, v212
	v_fma_f16 v210, v80, s13, v210
	v_fma_f16 v212, v79, s13, -v212
	;; [unrolled: 4-line block ×8, first 2 shown]
	v_add_f16_e32 v84, v50, v84
	v_add_f16_sdwa v209, v50, v209 dst_sel:DWORD dst_unused:UNUSED_PAD src0_sel:WORD_1 src1_sel:DWORD
	v_add_f16_e32 v83, v50, v83
	v_add_f16_sdwa v208, v50, v208 dst_sel:DWORD dst_unused:UNUSED_PAD src0_sel:WORD_1 src1_sel:DWORD
	;; [unrolled: 2-line block ×16, first 2 shown]
	v_add_f16_e32 v79, v197, v202
	v_sub_f16_e32 v82, v197, v202
	v_sub_f16_e32 v197, v199, v207
	v_add_f16_e32 v81, v199, v207
	v_mul_f16_e32 v199, 0xb964, v197
	v_fma_f16 v202, v79, s13, -v199
	v_add_f16_e32 v84, v202, v84
	v_mul_f16_e32 v202, 0xb964, v82
	v_fma_f16 v199, v79, s13, v199
	v_fma_f16 v207, v81, s13, v202
	v_add_f16_e32 v83, v199, v83
	v_fma_f16 v199, v81, s13, -v202
	v_mul_f16_e32 v202, 0xbbf7, v197
	v_add_f16_e32 v207, v207, v209
	v_add_f16_e32 v199, v199, v208
	v_fma_f16 v208, v79, s6, -v202
	v_mul_f16_e32 v209, 0xbbf7, v82
	v_fma_f16 v202, v79, s6, v202
	v_add_f16_e32 v208, v208, v211
	v_fma_f16 v211, v81, s6, v209
	v_add_f16_e32 v202, v202, v210
	v_fma_f16 v209, v81, s6, -v209
	v_mul_f16_e32 v210, 0xba62, v197
	v_add_f16_e32 v211, v211, v213
	v_add_f16_e32 v209, v209, v212
	v_fma_f16 v212, v79, s14, -v210
	v_mul_f16_e32 v213, 0xba62, v82
	v_fma_f16 v210, v79, s14, v210
	v_add_f16_e32 v212, v212, v215
	;; [unrolled: 10-line block ×5, first 2 shown]
	v_fma_f16 v227, v81, s7, v225
	v_add_f16_e32 v222, v222, v226
	v_fma_f16 v225, v81, s7, -v225
	v_mul_f16_e32 v226, 0x3b29, v197
	v_add_f16_e32 v225, v225, v228
	v_fma_f16 v228, v79, s12, -v226
	v_fma_f16 v226, v79, s12, v226
	v_mul_f16_e32 v197, 0x35c8, v197
	v_add_f16_e32 v227, v227, v229
	v_mul_f16_e32 v229, 0x3b29, v82
	v_add_f16_e32 v226, v226, v230
	v_fma_f16 v230, v79, s15, -v197
	v_mul_f16_e32 v82, 0x35c8, v82
	v_fma_f16 v79, v79, s15, v197
	v_add_f16_e32 v228, v228, v231
	v_fma_f16 v231, v81, s12, v229
	v_fma_f16 v229, v81, s12, -v229
	v_add_f16_e32 v79, v79, v80
	v_fma_f16 v80, v81, s15, -v82
	v_add_f16_e32 v229, v229, v232
	v_fma_f16 v232, v81, s15, v82
	v_add_f16_e32 v50, v80, v50
	v_add_f16_e32 v80, v193, v200
	v_sub_f16_e32 v82, v193, v200
	v_sub_f16_e32 v193, v194, v201
	v_add_f16_e32 v81, v194, v201
	v_mul_f16_e32 v194, 0xbb29, v193
	v_fma_f16 v197, v80, s12, -v194
	v_add_f16_e32 v84, v197, v84
	v_mul_f16_e32 v197, 0xbb29, v82
	v_fma_f16 v194, v80, s12, v194
	v_fma_f16 v200, v81, s12, v197
	v_add_f16_e32 v83, v194, v83
	v_fma_f16 v194, v81, s12, -v197
	v_mul_f16_e32 v197, 0xba62, v193
	v_add_f16_e32 v194, v194, v199
	v_fma_f16 v199, v80, s14, -v197
	v_fma_f16 v197, v80, s14, v197
	v_mul_f16_e32 v201, 0xba62, v82
	v_add_f16_e32 v197, v197, v202
	v_mul_f16_e32 v202, 0x31e1, v193
	v_add_f16_e32 v200, v200, v207
	v_add_f16_e32 v199, v199, v208
	v_fma_f16 v207, v81, s14, v201
	v_fma_f16 v201, v81, s14, -v201
	v_fma_f16 v208, v80, s17, -v202
	v_fma_f16 v202, v80, s17, v202
	v_add_f16_e32 v201, v201, v209
	v_mul_f16_e32 v209, 0x31e1, v82
	v_add_f16_e32 v202, v202, v210
	v_mul_f16_e32 v210, 0x3bb2, v193
	v_add_f16_e32 v207, v207, v211
	v_add_f16_e32 v208, v208, v212
	v_fma_f16 v211, v81, s17, v209
	v_fma_f16 v209, v81, s17, -v209
	v_fma_f16 v212, v80, s7, -v210
	v_fma_f16 v210, v80, s7, v210
	v_add_f16_e32 v209, v209, v213
	v_mul_f16_e32 v213, 0x3bb2, v82
	v_add_f16_e32 v210, v210, v214
	v_mul_f16_e32 v214, 0x3964, v193
	v_add_f16_e32 v211, v211, v215
	v_add_f16_e32 v212, v212, v216
	v_fma_f16 v215, v81, s7, v213
	v_fma_f16 v213, v81, s7, -v213
	v_fma_f16 v216, v80, s13, -v214
	v_fma_f16 v214, v80, s13, v214
	v_add_f16_e32 v213, v213, v217
	v_mul_f16_e32 v217, 0x3964, v82
	v_add_f16_e32 v214, v214, v218
	v_mul_f16_e32 v218, 0xb5c8, v193
	v_add_f16_e32 v215, v215, v219
	v_add_f16_e32 v216, v216, v220
	v_fma_f16 v219, v81, s13, v217
	v_fma_f16 v217, v81, s13, -v217
	v_fma_f16 v220, v80, s15, -v218
	v_fma_f16 v218, v80, s15, v218
	v_add_f16_e32 v217, v217, v221
	v_mul_f16_e32 v221, 0xb5c8, v82
	v_add_f16_e32 v218, v218, v222
	v_mul_f16_e32 v222, 0xbbf7, v193
	v_add_f16_e32 v219, v219, v223
	v_add_f16_e32 v220, v220, v224
	v_fma_f16 v223, v81, s15, v221
	v_fma_f16 v221, v81, s15, -v221
	v_fma_f16 v224, v80, s6, -v222
	v_fma_f16 v222, v80, s6, v222
	v_mul_f16_e32 v193, 0xb836, v193
	v_add_f16_e32 v221, v221, v225
	v_mul_f16_e32 v225, 0xbbf7, v82
	v_add_f16_e32 v222, v222, v226
	v_fma_f16 v226, v80, s16, -v193
	v_mul_f16_e32 v82, 0xb836, v82
	v_fma_f16 v80, v80, s16, v193
	v_add_f16_e32 v79, v80, v79
	v_fma_f16 v80, v81, s16, -v82
	v_add_f16_e32 v224, v224, v228
	v_fma_f16 v228, v81, s16, v82
	v_add_f16_e32 v50, v80, v50
	v_add_f16_e32 v80, v191, v195
	v_sub_f16_e32 v82, v191, v195
	v_sub_f16_e32 v191, v192, v196
	v_add_f16_e32 v223, v223, v227
	v_fma_f16 v227, v81, s6, v225
	v_fma_f16 v225, v81, s6, -v225
	v_add_f16_e32 v81, v192, v196
	v_mul_f16_e32 v192, 0xbbf7, v191
	v_fma_f16 v193, v80, s6, -v192
	v_add_f16_e32 v84, v193, v84
	v_mul_f16_e32 v193, 0xbbf7, v82
	v_fma_f16 v192, v80, s6, v192
	v_fma_f16 v195, v81, s6, v193
	v_add_f16_e32 v83, v192, v83
	v_fma_f16 v192, v81, s6, -v193
	v_mul_f16_e32 v193, 0xb1e1, v191
	v_add_f16_e32 v192, v192, v194
	v_fma_f16 v194, v80, s17, -v193
	v_fma_f16 v193, v80, s17, v193
	v_mul_f16_e32 v196, 0xb1e1, v82
	v_add_f16_e32 v193, v193, v197
	v_mul_f16_e32 v197, 0x3bb2, v191
	v_add_f16_e32 v195, v195, v200
	v_add_f16_e32 v194, v194, v199
	v_fma_f16 v199, v81, s17, v196
	v_fma_f16 v196, v81, s17, -v196
	v_fma_f16 v200, v80, s7, -v197
	v_fma_f16 v197, v80, s7, v197
	v_add_f16_e32 v196, v196, v201
	v_mul_f16_e32 v201, 0x3bb2, v82
	v_add_f16_e32 v197, v197, v202
	v_mul_f16_e32 v202, 0x35c8, v191
	v_add_f16_e32 v199, v199, v207
	v_add_f16_e32 v200, v200, v208
	v_fma_f16 v207, v81, s7, v201
	v_fma_f16 v201, v81, s7, -v201
	v_fma_f16 v208, v80, s15, -v202
	v_fma_f16 v202, v80, s15, v202
	v_add_f16_e32 v201, v201, v209
	;; [unrolled: 10-line block ×4, first 2 shown]
	v_mul_f16_e32 v217, 0xb836, v82
	v_add_f16_e32 v214, v214, v218
	v_mul_f16_e32 v218, 0x3a62, v191
	v_add_f16_e32 v215, v215, v219
	v_add_f16_e32 v216, v216, v220
	v_fma_f16 v219, v81, s16, v217
	v_fma_f16 v217, v81, s16, -v217
	v_fma_f16 v220, v80, s14, -v218
	v_fma_f16 v218, v80, s14, v218
	v_mul_f16_e32 v191, 0x3964, v191
	v_add_f16_e32 v217, v217, v221
	v_mul_f16_e32 v221, 0x3a62, v82
	v_add_f16_e32 v218, v218, v222
	v_fma_f16 v222, v80, s13, -v191
	v_mul_f16_e32 v82, 0x3964, v82
	v_fma_f16 v80, v80, s13, v191
	v_add_f16_e32 v79, v80, v79
	v_fma_f16 v80, v81, s13, -v82
	v_add_f16_e32 v220, v220, v224
	v_fma_f16 v224, v81, s13, v82
	v_add_f16_e32 v50, v80, v50
	v_add_f16_e32 v80, v187, v189
	v_sub_f16_e32 v82, v187, v189
	v_sub_f16_e32 v187, v188, v190
	v_add_f16_e32 v219, v219, v223
	v_fma_f16 v223, v81, s14, v221
	v_fma_f16 v221, v81, s14, -v221
	v_add_f16_e32 v81, v188, v190
	v_mul_f16_e32 v188, 0xbbb2, v187
	v_fma_f16 v189, v80, s7, -v188
	v_add_f16_e32 v84, v189, v84
	v_mul_f16_e32 v189, 0xbbb2, v82
	v_fma_f16 v188, v80, s7, v188
	v_fma_f16 v190, v81, s7, v189
	v_add_f16_e32 v83, v188, v83
	v_fma_f16 v188, v81, s7, -v189
	v_mul_f16_e32 v189, 0x3836, v187
	v_fma_f16 v191, v80, s16, -v189
	v_fma_f16 v189, v80, s16, v189
	v_add_f16_e32 v188, v188, v192
	v_mul_f16_e32 v192, 0x3836, v82
	v_add_f16_e32 v189, v189, v193
	v_mul_f16_e32 v193, 0x3964, v187
	v_add_f16_e32 v190, v190, v195
	v_add_f16_e32 v191, v191, v194
	v_fma_f16 v194, v81, s16, v192
	v_fma_f16 v192, v81, s16, -v192
	v_fma_f16 v195, v80, s13, -v193
	v_fma_f16 v193, v80, s13, v193
	v_add_f16_e32 v192, v192, v196
	v_mul_f16_e32 v196, 0x3964, v82
	v_add_f16_e32 v193, v193, v197
	v_mul_f16_e32 v197, 0xbb29, v187
	v_add_f16_e32 v194, v194, v199
	v_add_f16_e32 v195, v195, v200
	v_fma_f16 v199, v81, s13, v196
	v_fma_f16 v196, v81, s13, -v196
	v_fma_f16 v200, v80, s12, -v197
	v_fma_f16 v197, v80, s12, v197
	v_add_f16_e32 v196, v196, v201
	v_mul_f16_e32 v201, 0xbb29, v82
	v_add_f16_e32 v197, v197, v202
	v_mul_f16_e32 v202, 0xb1e1, v187
	v_add_f16_e32 v199, v199, v207
	v_add_f16_e32 v200, v200, v208
	v_fma_f16 v207, v81, s12, v201
	v_fma_f16 v201, v81, s12, -v201
	v_fma_f16 v208, v80, s17, -v202
	v_fma_f16 v202, v80, s17, v202
	v_add_f16_e32 v201, v201, v209
	v_mul_f16_e32 v209, 0xb1e1, v82
	v_add_f16_e32 v202, v202, v210
	v_mul_f16_e32 v210, 0x3bf7, v187
	v_add_f16_e32 v207, v207, v211
	v_add_f16_e32 v208, v208, v212
	v_fma_f16 v211, v81, s17, v209
	v_fma_f16 v209, v81, s17, -v209
	v_fma_f16 v212, v80, s6, -v210
	v_fma_f16 v210, v80, s6, v210
	v_add_f16_e32 v209, v209, v213
	v_mul_f16_e32 v213, 0x3bf7, v82
	v_add_f16_e32 v210, v210, v214
	v_mul_f16_e32 v214, 0xb5c8, v187
	v_add_f16_e32 v211, v211, v215
	v_add_f16_e32 v212, v212, v216
	v_fma_f16 v215, v81, s6, v213
	v_fma_f16 v213, v81, s6, -v213
	v_fma_f16 v216, v80, s15, -v214
	v_fma_f16 v214, v80, s15, v214
	v_mul_f16_e32 v187, 0xba62, v187
	v_add_f16_e32 v213, v213, v217
	v_mul_f16_e32 v217, 0xb5c8, v82
	v_add_f16_e32 v214, v214, v218
	v_fma_f16 v218, v80, s14, -v187
	v_mul_f16_e32 v82, 0xba62, v82
	v_fma_f16 v80, v80, s14, v187
	v_add_f16_e32 v79, v80, v79
	v_fma_f16 v80, v81, s14, -v82
	v_add_f16_e32 v216, v216, v220
	v_fma_f16 v220, v81, s14, v82
	v_add_f16_e32 v50, v80, v50
	v_add_f16_e32 v80, v183, v185
	v_sub_f16_e32 v82, v183, v185
	v_sub_f16_e32 v183, v184, v186
	v_add_f16_e32 v215, v215, v219
	v_fma_f16 v219, v81, s15, v217
	v_fma_f16 v217, v81, s15, -v217
	v_add_f16_e32 v81, v184, v186
	v_mul_f16_e32 v184, 0xba62, v183
	v_fma_f16 v185, v80, s14, -v184
	v_add_f16_e32 v84, v185, v84
	v_mul_f16_e32 v185, 0xba62, v82
	v_fma_f16 v184, v80, s14, v184
	v_fma_f16 v186, v81, s14, v185
	v_add_f16_e32 v83, v184, v83
	v_fma_f16 v184, v81, s14, -v185
	v_mul_f16_e32 v185, 0x3bb2, v183
	v_fma_f16 v187, v80, s7, -v185
	v_fma_f16 v185, v80, s7, v185
	v_add_f16_e32 v184, v184, v188
	v_mul_f16_e32 v188, 0x3bb2, v82
	v_add_f16_e32 v185, v185, v189
	v_mul_f16_e32 v189, 0xb5c8, v183
	v_add_f16_e32 v186, v186, v190
	v_add_f16_e32 v187, v187, v191
	v_fma_f16 v190, v81, s7, v188
	v_fma_f16 v188, v81, s7, -v188
	v_fma_f16 v191, v80, s15, -v189
	v_fma_f16 v189, v80, s15, v189
	v_add_f16_e32 v188, v188, v192
	v_mul_f16_e32 v192, 0xb5c8, v82
	v_add_f16_e32 v189, v189, v193
	v_mul_f16_e32 v193, 0xb836, v183
	v_add_f16_e32 v190, v190, v194
	v_add_f16_e32 v191, v191, v195
	v_fma_f16 v194, v81, s15, v192
	v_fma_f16 v192, v81, s15, -v192
	;; [unrolled: 10-line block ×5, first 2 shown]
	v_fma_f16 v212, v80, s17, -v210
	v_fma_f16 v210, v80, s17, v210
	v_mul_f16_e32 v183, 0x3b29, v183
	v_add_f16_e32 v209, v209, v213
	v_mul_f16_e32 v213, 0xb1e1, v82
	v_add_f16_e32 v210, v210, v214
	v_fma_f16 v214, v80, s12, -v183
	v_mul_f16_e32 v82, 0x3b29, v82
	v_fma_f16 v80, v80, s12, v183
	v_add_f16_e32 v79, v80, v79
	v_fma_f16 v80, v81, s12, -v82
	v_add_f16_e32 v212, v212, v216
	v_fma_f16 v216, v81, s12, v82
	v_add_f16_e32 v50, v80, v50
	v_add_f16_e32 v80, v122, v124
	v_sub_f16_e32 v82, v122, v124
	v_sub_f16_e32 v122, v123, v126
	v_add_f16_e32 v211, v211, v215
	v_fma_f16 v215, v81, s17, v213
	v_fma_f16 v213, v81, s17, -v213
	v_add_f16_e32 v81, v123, v126
	v_mul_f16_e32 v123, 0xb836, v122
	v_fma_f16 v124, v80, s16, -v123
	v_add_f16_e32 v84, v124, v84
	v_mul_f16_e32 v124, 0xb836, v82
	v_fma_f16 v123, v80, s16, v123
	v_fma_f16 v126, v81, s16, v124
	v_add_f16_e32 v83, v123, v83
	v_fma_f16 v123, v81, s16, -v124
	v_mul_f16_e32 v124, 0x3b29, v122
	v_add_f16_e32 v123, v123, v184
	v_fma_f16 v183, v80, s12, -v124
	v_mul_f16_e32 v184, 0x3b29, v82
	v_fma_f16 v124, v80, s12, v124
	v_add_f16_e32 v126, v126, v186
	v_fma_f16 v186, v81, s12, v184
	v_add_f16_e32 v124, v124, v185
	v_fma_f16 v184, v81, s12, -v184
	v_mul_f16_e32 v185, 0xbbf7, v122
	v_add_f16_e32 v183, v183, v187
	v_add_f16_e32 v184, v184, v188
	v_fma_f16 v187, v80, s6, -v185
	v_mul_f16_e32 v188, 0xbbf7, v82
	v_fma_f16 v185, v80, s6, v185
	v_add_f16_e32 v186, v186, v190
	v_fma_f16 v190, v81, s6, v188
	v_add_f16_e32 v185, v185, v189
	v_fma_f16 v188, v81, s6, -v188
	v_mul_f16_e32 v189, 0x3a62, v122
	v_add_f16_e32 v187, v187, v191
	;; [unrolled: 10-line block ×3, first 2 shown]
	v_add_f16_e32 v192, v192, v196
	v_fma_f16 v195, v80, s15, -v193
	v_mul_f16_e32 v196, 0xb5c8, v82
	v_fma_f16 v193, v80, s15, v193
	v_add_f16_e32 v194, v194, v199
	v_fma_f16 v199, v81, s15, v196
	v_add_f16_e32 v193, v193, v197
	v_mul_f16_e32 v197, 0xb1e1, v122
	v_add_f16_e32 v207, v199, v207
	v_fma_f16 v199, v80, s17, -v197
	v_add_f16_e32 v230, v230, v234
	v_add_f16_e32 v225, v225, v229
	;; [unrolled: 1-line block ×3, first 2 shown]
	v_mul_f16_e32 v199, 0xb1e1, v82
	v_add_f16_e32 v226, v226, v230
	v_add_f16_e32 v221, v221, v225
	v_add_f16_e32 v195, v195, v200
	v_fma_f16 v200, v81, s17, v199
	v_fma_f16 v199, v81, s17, -v199
	v_add_f16_e32 v222, v222, v226
	v_add_f16_e32 v217, v217, v221
	v_add_f16_e32 v209, v199, v209
	v_mul_f16_e32 v199, 0x3964, v122
	v_add_f16_e32 v218, v218, v222
	v_add_f16_e32 v213, v213, v217
	v_add_f16_e32 v217, v200, v211
	v_fma_f16 v200, v80, s13, -v199
	v_add_f16_e32 v214, v214, v218
	v_add_f16_e32 v218, v200, v212
	v_mul_f16_e32 v200, 0x3964, v82
	v_fma_f16 v199, v80, s13, v199
	v_add_f16_e32 v210, v199, v210
	v_fma_f16 v199, v81, s13, -v200
	v_mul_f16_e32 v122, 0xbbb2, v122
	v_add_f16_e32 v231, v231, v233
	v_fma_f16 v197, v80, s17, v197
	v_add_f16_e32 v221, v199, v213
	v_fma_f16 v199, v80, s7, -v122
	v_mul_f16_e32 v82, 0xbbb2, v82
	v_fma_f16 v80, v80, s7, v122
	v_add_f16_e32 v227, v227, v231
	v_fma_f16 v196, v81, s15, -v196
	v_add_f16_e32 v222, v199, v214
	v_fma_f16 v199, v81, s7, v82
	v_add_f16_e32 v79, v80, v79
	v_fma_f16 v80, v81, s7, -v82
	v_add_f16_e32 v82, v117, v121
	v_sub_f16_e32 v117, v117, v121
	v_add_f16_e32 v232, v232, v235
	v_add_f16_e32 v223, v223, v227
	;; [unrolled: 1-line block ×3, first 2 shown]
	v_fma_f16 v201, v81, s13, v200
	v_add_f16_e32 v80, v80, v50
	v_add_f16_e32 v81, v116, v118
	v_mul_f16_e32 v50, 0xb1e1, v117
	v_add_f16_e32 v228, v228, v232
	v_add_f16_e32 v219, v219, v223
	v_sub_f16_e32 v118, v116, v118
	v_fma_f16 v116, v81, s17, -v50
	v_add_f16_e32 v224, v224, v228
	v_add_f16_e32 v215, v215, v219
	;; [unrolled: 1-line block ×3, first 2 shown]
	v_mul_f16_e32 v84, 0xb1e1, v118
	v_fma_f16 v50, v81, s17, v50
	v_add_f16_e32 v220, v220, v224
	v_fma_f16 v116, v82, s17, v84
	v_add_f16_e32 v50, v50, v83
	v_fma_f16 v83, v82, s17, -v84
	v_add_f16_e32 v216, v216, v220
	v_add_f16_e32 v220, v116, v126
	;; [unrolled: 1-line block ×3, first 2 shown]
	v_mul_f16_e32 v83, 0x35c8, v117
	v_fma_f16 v84, v81, s15, -v83
	v_add_f16_e32 v211, v84, v183
	v_mul_f16_e32 v84, 0x35c8, v118
	v_fma_f16 v121, v82, s15, v84
	v_fma_f16 v83, v81, s15, v83
	v_add_f16_e32 v212, v121, v186
	v_add_f16_e32 v121, v83, v124
	v_fma_f16 v83, v82, s15, -v84
	v_add_f16_e32 v122, v83, v184
	v_mul_f16_e32 v83, 0xb836, v117
	v_fma_f16 v84, v81, s16, -v83
	v_add_f16_e32 v213, v84, v187
	v_mul_f16_e32 v84, 0xb836, v118
	v_fma_f16 v123, v82, s16, v84
	v_fma_f16 v83, v81, s16, v83
	v_add_f16_e32 v214, v123, v190
	v_add_f16_e32 v123, v83, v185
	v_fma_f16 v83, v82, s16, -v84
	v_add_f16_e32 v124, v83, v188
	v_mul_f16_e32 v83, 0x3964, v117
	v_fma_f16 v84, v81, s13, -v83
	v_add_f16_e32 v216, v199, v216
	v_add_f16_e32 v199, v84, v191
	v_mul_f16_e32 v84, 0x3964, v118
	v_fma_f16 v126, v82, s13, v84
	v_fma_f16 v83, v81, s13, v83
	v_add_f16_e32 v200, v126, v194
	v_add_f16_e32 v126, v83, v189
	v_fma_f16 v83, v82, s13, -v84
	v_add_f16_e32 v183, v83, v192
	v_mul_f16_e32 v83, 0xba62, v117
	v_fma_f16 v84, v81, s14, -v83
	v_add_f16_e32 v215, v201, v215
	v_add_f16_e32 v201, v84, v195
	v_mul_f16_e32 v84, 0xba62, v118
	v_fma_f16 v184, v82, s14, v84
	v_fma_f16 v83, v81, s14, v83
	v_add_f16_e32 v197, v197, v202
	v_add_f16_e32 v202, v184, v207
	;; [unrolled: 1-line block ×3, first 2 shown]
	v_fma_f16 v83, v82, s14, -v84
	v_add_f16_e32 v185, v83, v196
	v_mul_f16_e32 v83, 0x3b29, v117
	v_fma_f16 v84, v81, s12, -v83
	v_add_f16_e32 v194, v84, v208
	v_mul_f16_e32 v84, 0x3b29, v118
	v_fma_f16 v186, v82, s12, v84
	v_fma_f16 v83, v81, s12, v83
	v_add_f16_e32 v195, v186, v217
	v_add_f16_e32 v186, v83, v197
	v_fma_f16 v83, v82, s12, -v84
	v_add_f16_e32 v187, v83, v209
	v_mul_f16_e32 v83, 0xbbb2, v117
	v_fma_f16 v84, v81, s7, -v83
	v_add_f16_e32 v196, v84, v218
	v_mul_f16_e32 v84, 0xbbb2, v118
	v_fma_f16 v188, v82, s7, v84
	v_fma_f16 v83, v81, s7, v83
	v_add_f16_e32 v197, v188, v215
	v_add_f16_e32 v188, v83, v210
	v_fma_f16 v83, v82, s7, -v84
	v_add_f16_e32 v189, v83, v221
	v_mul_f16_e32 v83, 0x3bf7, v117
	v_fma_f16 v84, v81, s6, -v83
	v_add_f16_e32 v190, v84, v222
	v_mul_f16_e32 v84, 0x3bf7, v118
	v_fma_f16 v81, v81, s6, v83
	v_add_f16_e32 v192, v81, v79
	v_fma_f16 v79, v82, s6, -v84
	v_add_f16_e32 v193, v79, v80
	v_add_f16_e32 v79, v51, v203
	v_add_f16_sdwa v80, v51, v204 dst_sel:DWORD dst_unused:UNUSED_PAD src0_sel:WORD_1 src1_sel:DWORD
	v_add_f16_e32 v79, v79, v180
	v_add_f16_e32 v80, v80, v181
	;; [unrolled: 1-line block ×26, first 2 shown]
	v_fma_f16 v117, v82, s6, v84
	v_add_f16_e32 v79, v79, v182
	v_add_f16_e32 v80, v80, v198
	v_sub_f16_e32 v81, v203, v206
	v_sub_f16_e32 v82, v204, v205
	v_add_f16_e32 v191, v117, v216
	v_add_f16_e32 v117, v79, v206
	;; [unrolled: 1-line block ×5, first 2 shown]
	v_mul_f16_e32 v83, 0xb5c8, v82
	v_mul_f16_e32 v203, 0xb5c8, v81
	;; [unrolled: 1-line block ×16, first 2 shown]
	v_fma_f16 v84, v79, s15, -v83
	v_fma_f16 v204, v80, s15, v203
	v_fma_f16 v83, v79, s15, v83
	v_fma_f16 v203, v80, s15, -v203
	v_fma_f16 v206, v79, s13, -v205
	v_fma_f16 v208, v80, s13, v207
	v_fma_f16 v205, v79, s13, v205
	v_fma_f16 v207, v80, s13, -v207
	;; [unrolled: 4-line block ×8, first 2 shown]
	v_add_f16_e32 v84, v51, v84
	v_add_f16_sdwa v204, v51, v204 dst_sel:DWORD dst_unused:UNUSED_PAD src0_sel:WORD_1 src1_sel:DWORD
	v_add_f16_e32 v83, v51, v83
	v_add_f16_sdwa v203, v51, v203 dst_sel:DWORD dst_unused:UNUSED_PAD src0_sel:WORD_1 src1_sel:DWORD
	;; [unrolled: 2-line block ×16, first 2 shown]
	v_add_f16_e32 v80, v180, v182
	v_sub_f16_e32 v82, v180, v182
	v_sub_f16_e32 v180, v181, v198
	v_add_f16_e32 v81, v181, v198
	v_mul_f16_e32 v181, 0xb964, v180
	v_fma_f16 v182, v80, s13, -v181
	v_add_f16_e32 v84, v182, v84
	v_mul_f16_e32 v182, 0xb964, v82
	v_fma_f16 v181, v80, s13, v181
	v_fma_f16 v198, v81, s13, v182
	v_add_f16_e32 v83, v181, v83
	v_fma_f16 v181, v81, s13, -v182
	v_mul_f16_e32 v182, 0xbbf7, v180
	v_add_f16_e32 v198, v198, v204
	v_add_f16_e32 v181, v181, v203
	v_fma_f16 v203, v80, s6, -v182
	v_mul_f16_e32 v204, 0xbbf7, v82
	v_fma_f16 v182, v80, s6, v182
	v_add_f16_e32 v203, v203, v206
	v_fma_f16 v206, v81, s6, v204
	v_add_f16_e32 v182, v182, v205
	v_fma_f16 v204, v81, s6, -v204
	v_mul_f16_e32 v205, 0xba62, v180
	v_add_f16_e32 v206, v206, v208
	v_add_f16_e32 v204, v204, v207
	v_fma_f16 v207, v80, s14, -v205
	v_mul_f16_e32 v208, 0xba62, v82
	v_fma_f16 v205, v80, s14, v205
	v_add_f16_e32 v207, v207, v210
	;; [unrolled: 10-line block ×5, first 2 shown]
	v_fma_f16 v228, v81, s7, v226
	v_add_f16_e32 v223, v223, v227
	v_fma_f16 v226, v81, s7, -v226
	v_mul_f16_e32 v227, 0x3b29, v180
	v_add_f16_e32 v226, v226, v229
	v_fma_f16 v229, v80, s12, -v227
	v_fma_f16 v227, v80, s12, v227
	v_mul_f16_e32 v180, 0x35c8, v180
	v_add_f16_e32 v228, v228, v230
	v_mul_f16_e32 v230, 0x3b29, v82
	v_add_f16_e32 v227, v227, v231
	v_fma_f16 v231, v80, s15, -v180
	v_mul_f16_e32 v82, 0x35c8, v82
	v_fma_f16 v80, v80, s15, v180
	v_add_f16_e32 v229, v229, v232
	v_fma_f16 v232, v81, s12, v230
	v_fma_f16 v230, v81, s12, -v230
	v_add_f16_e32 v79, v80, v79
	v_fma_f16 v80, v81, s15, -v82
	v_add_f16_e32 v230, v230, v233
	v_fma_f16 v233, v81, s15, v82
	v_add_f16_e32 v51, v80, v51
	v_add_f16_e32 v80, v176, v178
	v_sub_f16_e32 v82, v176, v178
	v_sub_f16_e32 v176, v177, v179
	v_add_f16_e32 v81, v177, v179
	v_mul_f16_e32 v177, 0xbb29, v176
	v_fma_f16 v178, v80, s12, -v177
	v_add_f16_e32 v84, v178, v84
	v_mul_f16_e32 v178, 0xbb29, v82
	v_fma_f16 v177, v80, s12, v177
	v_fma_f16 v179, v81, s12, v178
	v_add_f16_e32 v83, v177, v83
	v_fma_f16 v177, v81, s12, -v178
	v_mul_f16_e32 v178, 0xba62, v176
	v_fma_f16 v180, v80, s14, -v178
	v_fma_f16 v178, v80, s14, v178
	v_add_f16_e32 v177, v177, v181
	v_mul_f16_e32 v181, 0xba62, v82
	v_add_f16_e32 v178, v178, v182
	v_mul_f16_e32 v182, 0x31e1, v176
	v_add_f16_e32 v179, v179, v198
	v_add_f16_e32 v180, v180, v203
	v_fma_f16 v198, v81, s14, v181
	v_fma_f16 v181, v81, s14, -v181
	v_fma_f16 v203, v80, s17, -v182
	v_fma_f16 v182, v80, s17, v182
	v_add_f16_e32 v181, v181, v204
	v_mul_f16_e32 v204, 0x31e1, v82
	v_add_f16_e32 v182, v182, v205
	v_mul_f16_e32 v205, 0x3bb2, v176
	v_add_f16_e32 v198, v198, v206
	v_add_f16_e32 v203, v203, v207
	v_fma_f16 v206, v81, s17, v204
	v_fma_f16 v204, v81, s17, -v204
	;; [unrolled: 10-line block ×5, first 2 shown]
	v_fma_f16 v225, v80, s6, -v223
	v_fma_f16 v223, v80, s6, v223
	v_mul_f16_e32 v176, 0xb836, v176
	v_add_f16_e32 v222, v222, v226
	v_mul_f16_e32 v226, 0xbbf7, v82
	v_add_f16_e32 v223, v223, v227
	v_fma_f16 v227, v80, s16, -v176
	v_mul_f16_e32 v82, 0xb836, v82
	v_fma_f16 v80, v80, s16, v176
	v_add_f16_e32 v79, v80, v79
	v_fma_f16 v80, v81, s16, -v82
	v_add_f16_e32 v225, v225, v229
	v_fma_f16 v229, v81, s16, v82
	v_add_f16_e32 v51, v80, v51
	v_add_f16_e32 v80, v172, v174
	v_sub_f16_e32 v82, v172, v174
	v_sub_f16_e32 v172, v173, v175
	v_add_f16_e32 v224, v224, v228
	v_fma_f16 v228, v81, s6, v226
	v_fma_f16 v226, v81, s6, -v226
	v_add_f16_e32 v81, v173, v175
	v_mul_f16_e32 v173, 0xbbf7, v172
	v_fma_f16 v174, v80, s6, -v173
	v_add_f16_e32 v84, v174, v84
	v_mul_f16_e32 v174, 0xbbf7, v82
	v_fma_f16 v173, v80, s6, v173
	v_fma_f16 v175, v81, s6, v174
	v_add_f16_e32 v83, v173, v83
	v_fma_f16 v173, v81, s6, -v174
	v_mul_f16_e32 v174, 0xb1e1, v172
	v_fma_f16 v176, v80, s17, -v174
	v_fma_f16 v174, v80, s17, v174
	v_add_f16_e32 v173, v173, v177
	v_mul_f16_e32 v177, 0xb1e1, v82
	v_add_f16_e32 v174, v174, v178
	v_mul_f16_e32 v178, 0x3bb2, v172
	v_add_f16_e32 v175, v175, v179
	v_add_f16_e32 v176, v176, v180
	v_fma_f16 v179, v81, s17, v177
	v_fma_f16 v177, v81, s17, -v177
	v_fma_f16 v180, v80, s7, -v178
	v_fma_f16 v178, v80, s7, v178
	v_add_f16_e32 v177, v177, v181
	v_mul_f16_e32 v181, 0x3bb2, v82
	v_add_f16_e32 v178, v178, v182
	v_mul_f16_e32 v182, 0x35c8, v172
	v_add_f16_e32 v179, v179, v198
	v_add_f16_e32 v180, v180, v203
	v_fma_f16 v198, v81, s7, v181
	v_fma_f16 v181, v81, s7, -v181
	;; [unrolled: 10-line block ×5, first 2 shown]
	v_fma_f16 v221, v80, s14, -v217
	v_fma_f16 v217, v80, s14, v217
	v_mul_f16_e32 v172, 0x3964, v172
	v_add_f16_e32 v216, v216, v222
	v_mul_f16_e32 v222, 0x3a62, v82
	v_add_f16_e32 v217, v217, v223
	v_fma_f16 v223, v80, s13, -v172
	v_mul_f16_e32 v82, 0x3964, v82
	v_fma_f16 v80, v80, s13, v172
	v_add_f16_e32 v79, v80, v79
	v_fma_f16 v80, v81, s13, -v82
	v_add_f16_e32 v221, v221, v225
	v_fma_f16 v225, v81, s13, v82
	v_add_f16_e32 v51, v80, v51
	v_add_f16_e32 v80, v168, v170
	v_sub_f16_e32 v82, v168, v170
	v_sub_f16_e32 v168, v169, v171
	v_add_f16_e32 v218, v218, v224
	v_fma_f16 v224, v81, s14, v222
	v_fma_f16 v222, v81, s14, -v222
	v_add_f16_e32 v81, v169, v171
	v_mul_f16_e32 v169, 0xbbb2, v168
	v_fma_f16 v170, v80, s7, -v169
	v_add_f16_e32 v84, v170, v84
	v_mul_f16_e32 v170, 0xbbb2, v82
	v_fma_f16 v169, v80, s7, v169
	v_fma_f16 v171, v81, s7, v170
	v_add_f16_e32 v83, v169, v83
	v_fma_f16 v169, v81, s7, -v170
	v_mul_f16_e32 v170, 0x3836, v168
	v_fma_f16 v172, v80, s16, -v170
	v_fma_f16 v170, v80, s16, v170
	v_add_f16_e32 v169, v169, v173
	v_mul_f16_e32 v173, 0x3836, v82
	v_add_f16_e32 v170, v170, v174
	v_mul_f16_e32 v174, 0x3964, v168
	v_add_f16_e32 v171, v171, v175
	v_add_f16_e32 v172, v172, v176
	v_fma_f16 v175, v81, s16, v173
	v_fma_f16 v173, v81, s16, -v173
	v_fma_f16 v176, v80, s13, -v174
	v_fma_f16 v174, v80, s13, v174
	v_add_f16_e32 v173, v173, v177
	v_mul_f16_e32 v177, 0x3964, v82
	v_add_f16_e32 v174, v174, v178
	v_mul_f16_e32 v178, 0xbb29, v168
	v_add_f16_e32 v175, v175, v179
	v_add_f16_e32 v176, v176, v180
	v_fma_f16 v179, v81, s13, v177
	v_fma_f16 v177, v81, s13, -v177
	;; [unrolled: 10-line block ×5, first 2 shown]
	v_fma_f16 v215, v80, s15, -v209
	v_fma_f16 v209, v80, s15, v209
	v_mul_f16_e32 v168, 0xba62, v168
	v_add_f16_e32 v208, v208, v216
	v_mul_f16_e32 v216, 0xb5c8, v82
	v_add_f16_e32 v209, v209, v217
	v_fma_f16 v217, v80, s14, -v168
	v_mul_f16_e32 v82, 0xba62, v82
	v_fma_f16 v80, v80, s14, v168
	v_add_f16_e32 v79, v80, v79
	v_fma_f16 v80, v81, s14, -v82
	v_add_f16_e32 v215, v215, v221
	v_fma_f16 v221, v81, s14, v82
	v_add_f16_e32 v51, v80, v51
	v_add_f16_e32 v80, v93, v125
	v_sub_f16_e32 v82, v93, v125
	v_sub_f16_e32 v93, v94, v167
	v_add_f16_e32 v210, v210, v218
	v_fma_f16 v218, v81, s15, v216
	v_fma_f16 v216, v81, s15, -v216
	v_add_f16_e32 v81, v94, v167
	v_mul_f16_e32 v94, 0xba62, v93
	v_fma_f16 v125, v80, s14, -v94
	v_add_f16_e32 v84, v125, v84
	v_mul_f16_e32 v125, 0xba62, v82
	v_fma_f16 v94, v80, s14, v94
	v_fma_f16 v167, v81, s14, v125
	v_add_f16_e32 v83, v94, v83
	v_fma_f16 v94, v81, s14, -v125
	v_mul_f16_e32 v125, 0x3bb2, v93
	v_fma_f16 v168, v80, s7, -v125
	v_fma_f16 v125, v80, s7, v125
	v_add_f16_e32 v94, v94, v169
	v_mul_f16_e32 v169, 0x3bb2, v82
	v_add_f16_e32 v125, v125, v170
	v_mul_f16_e32 v170, 0xb5c8, v93
	v_add_f16_e32 v167, v167, v171
	v_add_f16_e32 v168, v168, v172
	v_fma_f16 v171, v81, s7, v169
	v_fma_f16 v169, v81, s7, -v169
	v_fma_f16 v172, v80, s15, -v170
	v_fma_f16 v170, v80, s15, v170
	v_add_f16_e32 v169, v169, v173
	v_mul_f16_e32 v173, 0xb5c8, v82
	v_add_f16_e32 v170, v170, v174
	v_mul_f16_e32 v174, 0xb836, v93
	v_add_f16_e32 v171, v171, v175
	v_add_f16_e32 v172, v172, v176
	v_fma_f16 v175, v81, s15, v173
	v_fma_f16 v173, v81, s15, -v173
	;; [unrolled: 10-line block ×5, first 2 shown]
	v_fma_f16 v207, v80, s17, -v205
	v_fma_f16 v205, v80, s17, v205
	v_mul_f16_e32 v93, 0x3b29, v93
	v_add_f16_e32 v204, v204, v208
	v_mul_f16_e32 v208, 0xb1e1, v82
	v_add_f16_e32 v205, v205, v209
	v_fma_f16 v209, v80, s12, -v93
	v_mul_f16_e32 v82, 0x3b29, v82
	v_fma_f16 v80, v80, s12, v93
	v_add_f16_e32 v79, v80, v79
	v_fma_f16 v80, v81, s12, -v82
	v_add_f16_e32 v207, v207, v215
	v_fma_f16 v215, v81, s12, v82
	v_add_f16_e32 v51, v80, v51
	v_add_f16_e32 v80, v89, v91
	v_sub_f16_e32 v82, v89, v91
	v_sub_f16_e32 v89, v90, v92
	v_add_f16_e32 v206, v206, v210
	v_fma_f16 v210, v81, s17, v208
	v_fma_f16 v208, v81, s17, -v208
	v_add_f16_e32 v81, v90, v92
	v_mul_f16_e32 v90, 0xb836, v89
	v_fma_f16 v91, v80, s16, -v90
	v_add_f16_e32 v84, v91, v84
	v_mul_f16_e32 v91, 0xb836, v82
	v_fma_f16 v90, v80, s16, v90
	v_fma_f16 v92, v81, s16, v91
	v_add_f16_e32 v83, v90, v83
	v_fma_f16 v90, v81, s16, -v91
	v_mul_f16_e32 v91, 0x3b29, v89
	v_add_f16_e32 v90, v90, v94
	v_fma_f16 v93, v80, s12, -v91
	v_mul_f16_e32 v94, 0x3b29, v82
	v_fma_f16 v91, v80, s12, v91
	v_add_f16_e32 v92, v92, v167
	v_fma_f16 v167, v81, s12, v94
	v_add_f16_e32 v91, v91, v125
	v_fma_f16 v94, v81, s12, -v94
	v_mul_f16_e32 v125, 0xbbf7, v89
	v_add_f16_e32 v93, v93, v168
	v_add_f16_e32 v94, v94, v169
	v_fma_f16 v168, v80, s6, -v125
	v_mul_f16_e32 v169, 0xbbf7, v82
	v_fma_f16 v125, v80, s6, v125
	v_add_f16_e32 v170, v125, v170
	v_fma_f16 v125, v81, s6, -v169
	v_add_f16_e32 v167, v167, v171
	v_fma_f16 v171, v81, s6, v169
	v_add_f16_e32 v169, v125, v173
	v_mul_f16_e32 v125, 0x3a62, v89
	v_add_f16_e32 v168, v168, v172
	v_fma_f16 v172, v80, s14, -v125
	v_mul_f16_e32 v173, 0x3a62, v82
	v_fma_f16 v125, v80, s14, v125
	v_add_f16_e32 v174, v125, v174
	v_fma_f16 v125, v81, s14, -v173
	v_add_f16_e32 v171, v171, v175
	v_fma_f16 v175, v81, s14, v173
	v_add_f16_e32 v173, v125, v177
	v_mul_f16_e32 v125, 0xb5c8, v89
	;; [unrolled: 10-line block ×3, first 2 shown]
	v_add_f16_e32 v231, v231, v235
	v_add_f16_e32 v176, v176, v180
	v_fma_f16 v180, v80, s17, -v125
	v_mul_f16_e32 v181, 0xb1e1, v82
	v_fma_f16 v125, v80, s17, v125
	v_add_f16_e32 v233, v233, v236
	v_add_f16_e32 v227, v227, v231
	v_add_f16_e32 v182, v125, v182
	v_fma_f16 v125, v81, s17, -v181
	v_add_f16_e32 v226, v226, v230
	v_add_f16_e32 v229, v229, v233
	;; [unrolled: 1-line block ×4, first 2 shown]
	v_fma_f16 v198, v81, s17, v181
	v_add_f16_e32 v181, v125, v204
	v_mul_f16_e32 v125, 0x3964, v89
	v_add_f16_e32 v222, v222, v226
	v_add_f16_e32 v225, v225, v229
	;; [unrolled: 1-line block ×4, first 2 shown]
	v_fma_f16 v203, v80, s13, -v125
	v_add_f16_e32 v216, v216, v222
	v_add_f16_e32 v221, v221, v225
	;; [unrolled: 1-line block ×4, first 2 shown]
	v_mul_f16_e32 v203, 0x3964, v82
	v_fma_f16 v125, v80, s13, v125
	v_add_f16_e32 v208, v208, v216
	v_add_f16_e32 v215, v215, v221
	v_add_f16_e32 v221, v125, v205
	v_fma_f16 v125, v81, s13, -v203
	v_mul_f16_e32 v89, 0xbbb2, v89
	v_add_f16_e32 v222, v125, v208
	v_fma_f16 v125, v80, s7, -v89
	v_mul_f16_e32 v82, 0xbbb2, v82
	v_fma_f16 v80, v80, s7, v89
	v_add_f16_e32 v223, v125, v209
	v_fma_f16 v125, v81, s7, v82
	v_add_f16_e32 v79, v80, v79
	v_fma_f16 v80, v81, s7, -v82
	v_add_f16_e32 v82, v86, v88
	v_sub_f16_e32 v86, v86, v88
	v_fma_f16 v204, v81, s13, v203
	v_add_f16_e32 v80, v80, v51
	v_add_f16_e32 v81, v85, v87
	v_mul_f16_e32 v51, 0xb1e1, v86
	v_add_f16_e32 v232, v232, v234
	v_sub_f16_e32 v85, v85, v87
	v_fma_f16 v87, v81, s17, -v51
	v_add_f16_e32 v228, v228, v232
	v_add_f16_e32 v237, v87, v84
	v_mul_f16_e32 v84, 0xb1e1, v85
	v_fma_f16 v51, v81, s17, v51
	v_add_f16_e32 v224, v224, v228
	v_add_f16_e32 v51, v51, v83
	v_fma_f16 v83, v82, s17, -v84
	v_add_f16_e32 v218, v218, v224
	v_add_f16_e32 v224, v125, v215
	;; [unrolled: 1-line block ×3, first 2 shown]
	v_mul_f16_e32 v83, 0x35c8, v86
	v_fma_f16 v87, v82, s17, v84
	v_fma_f16 v84, v81, s15, -v83
	v_add_f16_e32 v233, v84, v93
	v_mul_f16_e32 v84, 0x35c8, v85
	v_fma_f16 v83, v81, s15, v83
	v_add_f16_e32 v210, v210, v218
	v_add_f16_e32 v203, v83, v91
	v_fma_f16 v83, v82, s15, -v84
	v_add_f16_e32 v218, v204, v210
	v_add_f16_e32 v204, v83, v94
	v_mul_f16_e32 v83, 0xb836, v86
	v_add_f16_e32 v238, v87, v92
	v_fma_f16 v87, v82, s15, v84
	v_fma_f16 v84, v81, s16, -v83
	v_add_f16_e32 v235, v84, v168
	v_mul_f16_e32 v84, 0xb836, v85
	v_fma_f16 v83, v81, s16, v83
	v_add_f16_e32 v205, v83, v170
	v_fma_f16 v83, v82, s16, -v84
	v_add_f16_e32 v198, v198, v206
	v_add_f16_e32 v206, v83, v169
	v_mul_f16_e32 v83, 0x3964, v86
	v_add_f16_e32 v234, v87, v167
	v_fma_f16 v87, v82, s16, v84
	v_fma_f16 v84, v81, s13, -v83
	v_add_f16_e32 v229, v84, v172
	v_mul_f16_e32 v84, 0x3964, v85
	v_fma_f16 v83, v81, s13, v83
	v_add_f16_e32 v207, v83, v174
	v_fma_f16 v83, v82, s13, -v84
	v_add_f16_e32 v208, v83, v173
	v_mul_f16_e32 v83, 0xba62, v86
	v_add_f16_e32 v236, v87, v171
	v_fma_f16 v87, v82, s13, v84
	v_fma_f16 v84, v81, s14, -v83
	v_add_f16_e32 v231, v84, v176
	v_mul_f16_e32 v84, 0xba62, v85
	v_fma_f16 v83, v81, s14, v83
	v_add_f16_e32 v209, v83, v178
	v_fma_f16 v83, v82, s14, -v84
	;; [unrolled: 10-line block ×3, first 2 shown]
	v_add_f16_e32 v216, v83, v181
	v_mul_f16_e32 v83, 0xbbb2, v86
	v_add_f16_e32 v232, v87, v179
	v_fma_f16 v87, v82, s12, v84
	v_fma_f16 v84, v81, s7, -v83
	v_add_f16_e32 v227, v84, v217
	v_mul_f16_e32 v84, 0xbbb2, v85
	v_fma_f16 v83, v81, s7, v83
	v_add_f16_e32 v226, v87, v198
	v_fma_f16 v87, v82, s7, v84
	v_add_f16_e32 v217, v83, v221
	v_fma_f16 v83, v82, s7, -v84
	v_add_f16_e32 v228, v87, v218
	v_add_f16_e32 v218, v83, v222
	v_mul_f16_e32 v83, 0x3bf7, v86
	v_fma_f16 v84, v81, s6, -v83
	v_add_f16_e32 v221, v84, v223
	v_mul_f16_e32 v84, 0x3bf7, v85
	v_fma_f16 v81, v81, s6, v83
	v_fma_f16 v85, v82, s6, v84
	v_add_f16_e32 v223, v81, v79
	v_fma_f16 v79, v82, s6, -v84
	v_sub_f16_e32 v81, v56, v111
	v_sub_f16_e32 v82, v49, v98
	v_add_f16_e32 v222, v85, v224
	v_add_f16_e32 v224, v79, v80
	;; [unrolled: 1-line block ×4, first 2 shown]
	v_mul_f16_e32 v83, 0xb5c8, v82
	v_mul_f16_e32 v85, 0xb5c8, v81
	;; [unrolled: 1-line block ×9, first 2 shown]
	v_sub_f16_e32 v241, v52, v73
	v_fma_f16 v84, v79, s15, -v83
	v_fma_f16 v86, v80, s15, v85
	v_fma_f16 v85, v80, s15, -v85
	v_fma_f16 v90, v80, s13, v89
	;; [unrolled: 2-line block ×8, first 2 shown]
	v_fma_f16 v80, v80, s17, -v81
	v_add_f16_e32 v81, v58, v110
	v_mul_f16_e32 v242, 0xb964, v241
	v_add_f16_e32 v84, v48, v84
	v_fma_f16 v83, v79, s15, v83
	v_mul_f16_e32 v87, 0xb964, v82
	v_mul_f16_e32 v91, 0xbb29, v82
	;; [unrolled: 1-line block ×7, first 2 shown]
	v_sub_f16_e32 v240, v58, v110
	v_fma_f16 v243, v81, s13, -v242
	v_add_f16_e32 v83, v48, v83
	v_fma_f16 v88, v79, s13, -v87
	v_fma_f16 v87, v79, s13, v87
	v_fma_f16 v92, v79, s12, -v91
	v_fma_f16 v91, v79, s12, v91
	;; [unrolled: 2-line block ×7, first 2 shown]
	v_add_f16_e32 v82, v52, v73
	v_add_f16_e32 v84, v243, v84
	v_mul_f16_e32 v243, 0xb964, v240
	v_fma_f16 v242, v81, s13, v242
	v_add_f16_e32 v85, v96, v85
	v_add_f16_e32 v83, v242, v83
	v_fma_f16 v242, v82, s13, -v243
	v_add_f16_e32 v85, v242, v85
	v_mul_f16_e32 v242, 0xbbf7, v241
	v_add_f16_e32 v88, v48, v88
	v_fma_f16 v244, v82, s13, v243
	v_fma_f16 v243, v81, s6, -v242
	v_add_f16_e32 v87, v48, v87
	v_add_f16_e32 v88, v243, v88
	v_mul_f16_e32 v243, 0xbbf7, v240
	v_fma_f16 v242, v81, s6, v242
	v_add_f16_e32 v89, v96, v89
	v_add_f16_e32 v87, v242, v87
	v_fma_f16 v242, v82, s6, -v243
	v_add_f16_e32 v86, v96, v86
	v_add_f16_e32 v89, v242, v89
	v_mul_f16_e32 v242, 0xba62, v241
	v_add_f16_e32 v92, v48, v92
	v_add_f16_e32 v86, v244, v86
	v_fma_f16 v244, v82, s6, v243
	v_fma_f16 v243, v81, s14, -v242
	v_add_f16_e32 v91, v48, v91
	v_add_f16_e32 v92, v243, v92
	v_mul_f16_e32 v243, 0xba62, v240
	v_fma_f16 v242, v81, s14, v242
	v_add_f16_e32 v93, v96, v93
	v_add_f16_e32 v91, v242, v91
	v_fma_f16 v242, v82, s14, -v243
	v_add_f16_e32 v90, v96, v90
	v_add_f16_e32 v93, v242, v93
	v_mul_f16_e32 v242, 0xb1e1, v241
	v_add_f16_e32 v168, v48, v168
	v_add_f16_e32 v90, v244, v90
	v_fma_f16 v244, v82, s14, v243
	v_fma_f16 v243, v81, s17, -v242
	v_add_f16_e32 v167, v48, v167
	v_add_f16_e32 v168, v243, v168
	v_mul_f16_e32 v243, 0xb1e1, v240
	v_fma_f16 v242, v81, s17, v242
	v_add_f16_e32 v169, v96, v169
	v_add_f16_e32 v167, v242, v167
	v_fma_f16 v242, v82, s17, -v243
	v_add_f16_e32 v94, v96, v94
	v_add_f16_e32 v169, v242, v169
	v_mul_f16_e32 v242, 0x3836, v241
	v_add_f16_e32 v172, v48, v172
	v_add_f16_e32 v94, v244, v94
	v_fma_f16 v244, v82, s17, v243
	v_fma_f16 v243, v81, s16, -v242
	v_add_f16_e32 v171, v48, v171
	v_add_f16_e32 v172, v243, v172
	v_mul_f16_e32 v243, 0x3836, v240
	v_fma_f16 v242, v81, s16, v242
	v_add_f16_e32 v173, v96, v173
	v_add_f16_e32 v171, v242, v171
	v_fma_f16 v242, v82, s16, -v243
	v_add_f16_e32 v170, v96, v170
	v_add_f16_e32 v173, v242, v173
	v_mul_f16_e32 v242, 0x3bb2, v241
	v_add_f16_e32 v176, v48, v176
	v_add_f16_e32 v170, v244, v170
	v_fma_f16 v244, v82, s16, v243
	v_fma_f16 v243, v81, s7, -v242
	v_add_f16_e32 v175, v48, v175
	v_add_f16_e32 v176, v243, v176
	v_mul_f16_e32 v243, 0x3bb2, v240
	v_fma_f16 v242, v81, s7, v242
	v_add_f16_e32 v177, v96, v177
	v_add_f16_e32 v175, v242, v175
	v_fma_f16 v242, v82, s7, -v243
	v_add_f16_e32 v174, v96, v174
	v_add_f16_e32 v177, v242, v177
	v_mul_f16_e32 v242, 0x3b29, v241
	v_add_f16_e32 v180, v48, v180
	v_add_f16_e32 v174, v244, v174
	v_fma_f16 v244, v82, s7, v243
	v_fma_f16 v243, v81, s12, -v242
	v_add_f16_e32 v179, v48, v179
	v_add_f16_e32 v180, v243, v180
	v_mul_f16_e32 v243, 0x3b29, v240
	v_fma_f16 v242, v81, s12, v242
	v_add_f16_e32 v181, v96, v181
	v_add_f16_e32 v179, v242, v179
	v_fma_f16 v242, v82, s12, -v243
	v_mul_f16_e32 v241, 0x35c8, v241
	v_add_f16_e32 v198, v48, v198
	v_add_f16_e32 v79, v48, v79
	;; [unrolled: 1-line block ×3, first 2 shown]
	v_fma_f16 v242, v81, s15, -v241
	v_mul_f16_e32 v240, 0x35c8, v240
	v_fma_f16 v81, v81, s15, v241
	v_add_f16_e32 v239, v96, v239
	v_add_f16_e32 v80, v96, v80
	;; [unrolled: 1-line block ×3, first 2 shown]
	v_fma_f16 v242, v82, s15, v240
	v_add_f16_e32 v79, v81, v79
	v_fma_f16 v81, v82, s15, -v240
	v_sub_f16_e32 v241, v53, v72
	v_add_f16_e32 v178, v96, v178
	v_add_f16_e32 v239, v242, v239
	;; [unrolled: 1-line block ×4, first 2 shown]
	v_mul_f16_e32 v242, 0xbb29, v241
	v_add_f16_e32 v178, v244, v178
	v_fma_f16 v244, v82, s12, v243
	v_sub_f16_e32 v240, v60, v109
	v_fma_f16 v243, v81, s12, -v242
	v_add_f16_e32 v82, v53, v72
	v_add_f16_e32 v84, v243, v84
	v_mul_f16_e32 v243, 0xbb29, v240
	v_fma_f16 v242, v81, s12, v242
	v_add_f16_e32 v83, v242, v83
	v_fma_f16 v242, v82, s12, -v243
	v_add_f16_e32 v182, v96, v182
	v_add_f16_e32 v85, v242, v85
	v_mul_f16_e32 v242, 0xba62, v241
	v_add_f16_e32 v182, v244, v182
	v_fma_f16 v244, v82, s12, v243
	v_fma_f16 v243, v81, s14, -v242
	v_add_f16_e32 v88, v243, v88
	v_mul_f16_e32 v243, 0xba62, v240
	v_fma_f16 v242, v81, s14, v242
	v_add_f16_e32 v87, v242, v87
	v_fma_f16 v242, v82, s14, -v243
	v_add_f16_e32 v89, v242, v89
	v_mul_f16_e32 v242, 0x31e1, v241
	v_add_f16_e32 v86, v244, v86
	v_fma_f16 v244, v82, s14, v243
	v_fma_f16 v243, v81, s17, -v242
	v_add_f16_e32 v92, v243, v92
	v_mul_f16_e32 v243, 0x31e1, v240
	v_fma_f16 v242, v81, s17, v242
	v_add_f16_e32 v91, v242, v91
	v_fma_f16 v242, v82, s17, -v243
	;; [unrolled: 10-line block ×6, first 2 shown]
	v_mul_f16_e32 v241, 0xb836, v241
	v_add_f16_e32 v181, v242, v181
	v_fma_f16 v242, v81, s16, -v241
	v_mul_f16_e32 v240, 0xb836, v240
	v_fma_f16 v81, v81, s16, v241
	v_add_f16_e32 v198, v242, v198
	v_fma_f16 v242, v82, s16, v240
	v_add_f16_e32 v79, v81, v79
	v_fma_f16 v81, v82, s16, -v240
	v_sub_f16_e32 v241, v54, v69
	v_add_f16_e32 v239, v242, v239
	v_add_f16_e32 v80, v81, v80
	;; [unrolled: 1-line block ×3, first 2 shown]
	v_mul_f16_e32 v242, 0xbbf7, v241
	v_add_f16_e32 v178, v244, v178
	v_fma_f16 v244, v82, s6, v243
	v_sub_f16_e32 v240, v62, v108
	v_fma_f16 v243, v81, s6, -v242
	v_add_f16_e32 v82, v54, v69
	v_add_f16_e32 v84, v243, v84
	v_mul_f16_e32 v243, 0xbbf7, v240
	v_fma_f16 v242, v81, s6, v242
	v_add_f16_e32 v83, v242, v83
	v_fma_f16 v242, v82, s6, -v243
	v_add_f16_e32 v85, v242, v85
	v_mul_f16_e32 v242, 0xb1e1, v241
	v_add_f16_e32 v182, v244, v182
	v_fma_f16 v244, v82, s6, v243
	v_fma_f16 v243, v81, s17, -v242
	v_add_f16_e32 v88, v243, v88
	v_mul_f16_e32 v243, 0xb1e1, v240
	v_fma_f16 v242, v81, s17, v242
	v_add_f16_e32 v87, v242, v87
	v_fma_f16 v242, v82, s17, -v243
	v_add_f16_e32 v89, v242, v89
	v_mul_f16_e32 v242, 0x3bb2, v241
	v_add_f16_e32 v86, v244, v86
	v_fma_f16 v244, v82, s17, v243
	v_fma_f16 v243, v81, s7, -v242
	;; [unrolled: 10-line block ×6, first 2 shown]
	v_add_f16_e32 v180, v243, v180
	v_mul_f16_e32 v243, 0x3a62, v240
	v_fma_f16 v242, v81, s14, v242
	v_add_f16_e32 v179, v242, v179
	v_fma_f16 v242, v82, s14, -v243
	v_mul_f16_e32 v241, 0x3964, v241
	v_add_f16_e32 v181, v242, v181
	v_fma_f16 v242, v81, s13, -v241
	v_mul_f16_e32 v240, 0x3964, v240
	v_fma_f16 v81, v81, s13, v241
	v_add_f16_e32 v198, v242, v198
	v_fma_f16 v242, v82, s13, v240
	v_add_f16_e32 v79, v81, v79
	v_fma_f16 v81, v82, s13, -v240
	v_sub_f16_e32 v241, v55, v68
	v_add_f16_e32 v239, v242, v239
	v_add_f16_e32 v80, v81, v80
	;; [unrolled: 1-line block ×3, first 2 shown]
	v_mul_f16_e32 v242, 0xbbb2, v241
	v_add_f16_e32 v178, v244, v178
	v_fma_f16 v244, v82, s14, v243
	v_sub_f16_e32 v240, v64, v107
	v_fma_f16 v243, v81, s7, -v242
	v_add_f16_e32 v82, v55, v68
	v_add_f16_e32 v84, v243, v84
	v_mul_f16_e32 v243, 0xbbb2, v240
	v_fma_f16 v242, v81, s7, v242
	v_add_f16_e32 v83, v242, v83
	v_fma_f16 v242, v82, s7, -v243
	v_add_f16_e32 v85, v242, v85
	v_mul_f16_e32 v242, 0x3836, v241
	v_add_f16_e32 v182, v244, v182
	v_fma_f16 v244, v82, s7, v243
	v_fma_f16 v243, v81, s16, -v242
	v_add_f16_e32 v88, v243, v88
	v_mul_f16_e32 v243, 0x3836, v240
	v_fma_f16 v242, v81, s16, v242
	v_add_f16_e32 v87, v242, v87
	v_fma_f16 v242, v82, s16, -v243
	v_add_f16_e32 v89, v242, v89
	v_mul_f16_e32 v242, 0x3964, v241
	v_add_f16_e32 v86, v244, v86
	v_fma_f16 v244, v82, s16, v243
	v_fma_f16 v243, v81, s13, -v242
	;; [unrolled: 10-line block ×6, first 2 shown]
	v_add_f16_e32 v180, v243, v180
	v_mul_f16_e32 v243, 0xb5c8, v240
	v_fma_f16 v242, v81, s15, v242
	v_add_f16_e32 v179, v242, v179
	v_fma_f16 v242, v82, s15, -v243
	v_mul_f16_e32 v241, 0xba62, v241
	v_add_f16_e32 v181, v242, v181
	v_fma_f16 v242, v81, s14, -v241
	v_mul_f16_e32 v240, 0xba62, v240
	v_fma_f16 v81, v81, s14, v241
	v_add_f16_e32 v198, v242, v198
	v_fma_f16 v242, v82, s14, v240
	v_add_f16_e32 v79, v81, v79
	v_fma_f16 v81, v82, s14, -v240
	v_sub_f16_e32 v241, v57, v67
	v_add_f16_e32 v239, v242, v239
	v_add_f16_e32 v80, v81, v80
	v_add_f16_e32 v81, v66, v97
	v_mul_f16_e32 v242, 0xba62, v241
	v_add_f16_e32 v178, v244, v178
	v_fma_f16 v244, v82, s15, v243
	v_sub_f16_e32 v240, v66, v97
	v_fma_f16 v243, v81, s14, -v242
	v_add_f16_e32 v82, v57, v67
	v_add_f16_e32 v84, v243, v84
	v_mul_f16_e32 v243, 0xba62, v240
	v_fma_f16 v242, v81, s14, v242
	v_add_f16_e32 v83, v242, v83
	v_fma_f16 v242, v82, s14, -v243
	v_add_f16_e32 v85, v242, v85
	v_mul_f16_e32 v242, 0x3bb2, v241
	v_add_f16_e32 v182, v244, v182
	v_fma_f16 v244, v82, s14, v243
	v_fma_f16 v243, v81, s7, -v242
	v_add_f16_e32 v88, v243, v88
	v_mul_f16_e32 v243, 0x3bb2, v240
	v_fma_f16 v242, v81, s7, v242
	v_add_f16_e32 v87, v242, v87
	v_fma_f16 v242, v82, s7, -v243
	v_add_f16_e32 v89, v242, v89
	v_mul_f16_e32 v242, 0xb5c8, v241
	v_add_f16_e32 v86, v244, v86
	v_fma_f16 v244, v82, s7, v243
	v_fma_f16 v243, v81, s15, -v242
	;; [unrolled: 10-line block ×6, first 2 shown]
	v_add_f16_e32 v180, v243, v180
	v_mul_f16_e32 v243, 0xb1e1, v240
	v_add_f16_e32 v178, v244, v178
	v_fma_f16 v244, v82, s17, v243
	v_fma_f16 v177, v81, s17, v177
	v_add_f16_e32 v182, v244, v182
	v_add_f16_e32 v244, v177, v179
	v_fma_f16 v177, v82, s17, -v243
	v_add_f16_e32 v181, v177, v181
	v_mul_f16_e32 v177, 0x3b29, v241
	v_fma_f16 v179, v81, s12, -v177
	v_add_f16_e32 v241, v179, v198
	v_mul_f16_e32 v179, 0x3b29, v240
	v_fma_f16 v81, v81, s12, v177
	v_add_f16_e32 v79, v81, v79
	v_fma_f16 v81, v82, s12, -v179
	v_sub_f16_e32 v243, v59, v65
	v_add_f16_e32 v80, v81, v80
	v_add_f16_e32 v81, v70, v75
	v_mul_f16_e32 v177, 0xb836, v243
	v_fma_f16 v198, v82, s12, v179
	v_sub_f16_e32 v240, v70, v75
	v_fma_f16 v179, v81, s16, -v177
	v_add_f16_e32 v82, v59, v65
	v_add_f16_e32 v84, v179, v84
	v_mul_f16_e32 v179, 0xb836, v240
	v_fma_f16 v177, v81, s16, v177
	v_add_f16_e32 v83, v177, v83
	v_fma_f16 v177, v82, s16, -v179
	v_add_f16_e32 v85, v177, v85
	v_mul_f16_e32 v177, 0x3b29, v243
	v_add_f16_e32 v239, v198, v239
	v_fma_f16 v198, v82, s16, v179
	v_fma_f16 v179, v81, s12, -v177
	v_add_f16_e32 v245, v179, v88
	v_mul_f16_e32 v88, 0x3b29, v240
	v_fma_f16 v179, v82, s12, v88
	v_add_f16_e32 v246, v179, v90
	v_fma_f16 v90, v81, s12, v177
	v_add_f16_e32 v247, v90, v87
	v_fma_f16 v87, v82, s12, -v88
	v_add_f16_e32 v248, v87, v89
	v_mul_f16_e32 v87, 0xbbf7, v243
	v_fma_f16 v88, v81, s6, -v87
	v_add_f16_e32 v249, v88, v92
	v_mul_f16_e32 v88, 0xbbf7, v240
	v_fma_f16 v87, v81, s6, v87
	v_add_f16_e32 v251, v87, v91
	v_fma_f16 v87, v82, s6, -v88
	v_add_f16_e32 v252, v87, v93
	v_mul_f16_e32 v87, 0x3a62, v243
	v_fma_f16 v89, v82, s6, v88
	v_fma_f16 v88, v81, s14, -v87
	v_add_f16_e32 v253, v88, v168
	v_mul_f16_e32 v88, 0x3a62, v240
	v_fma_f16 v87, v81, s14, v87
	v_add_f16_e32 v250, v89, v94
	v_fma_f16 v89, v82, s14, v88
	v_add_f16_e32 v255, v87, v167
	v_fma_f16 v87, v82, s14, -v88
	v_mul_f16_e32 v88, 0xb5c8, v243
	v_add_f16_e32 v254, v89, v170
	v_add_f16_e32 v166, v87, v169
	v_fma_f16 v87, v81, s15, -v88
	v_mul_f16_e32 v89, 0xb5c8, v240
	v_fma_f16 v88, v81, s15, v88
	v_fma_f16 v90, v82, s15, v89
	v_add_f16_e32 v177, v88, v171
	v_fma_f16 v88, v82, s15, -v89
	v_mul_f16_e32 v89, 0xb1e1, v243
	v_mul_f16_e32 v91, 0xb1e1, v240
	v_add_f16_e32 v179, v88, v173
	v_fma_f16 v88, v81, s17, -v89
	v_fma_f16 v92, v82, s17, v91
	v_add_f16_e32 v88, v88, v176
	v_add_f16_e32 v176, v92, v178
	v_fma_f16 v91, v82, s17, -v91
	v_mul_f16_e32 v92, 0x3964, v243
	v_add_f16_e32 v178, v91, v242
	v_fma_f16 v91, v81, s13, -v92
	v_mul_f16_e32 v93, 0x3964, v240
	v_fma_f16 v92, v81, s13, v92
	v_add_f16_e32 v91, v91, v180
	v_fma_f16 v94, v82, s13, v93
	v_add_f16_e32 v180, v92, v244
	v_fma_f16 v92, v82, s13, -v93
	v_mul_f16_e32 v93, 0xbbb2, v243
	v_add_f16_e32 v86, v198, v86
	v_add_f16_e32 v198, v92, v181
	v_fma_f16 v92, v81, s7, -v93
	v_mul_f16_e32 v167, 0xbbb2, v240
	v_add_f16_e32 v92, v92, v241
	v_fma_f16 v168, v82, s7, v167
	v_sub_f16_e32 v241, v71, v74
	v_add_f16_e32 v90, v90, v174
	v_add_f16_e32 v181, v168, v239
	;; [unrolled: 1-line block ×3, first 2 shown]
	v_mul_f16_e32 v174, 0x3964, v241
	v_add_f16_e32 v87, v87, v172
	v_sub_f16_e32 v242, v61, v63
	v_fma_f16 v172, v239, s13, v174
	v_fma_f16 v174, v239, s13, -v174
	v_fma_f16 v89, v81, s17, v89
	v_add_f16_e32 v240, v71, v74
	v_add_f16_e32 v174, v174, v166
	v_mul_f16_e32 v166, 0xba62, v242
	v_add_f16_e32 v89, v89, v175
	v_fma_f16 v175, v240, s14, -v166
	v_mul_f16_e32 v243, 0xba62, v241
	v_add_f16_e32 v87, v175, v87
	v_fma_f16 v175, v239, s14, v243
	v_add_f16_e32 v175, v175, v90
	v_fma_f16 v90, v240, s14, v166
	v_fma_f16 v166, v239, s14, -v243
	v_add_f16_e32 v90, v90, v177
	v_add_f16_e32 v177, v166, v179
	v_mul_f16_e32 v166, 0x3b29, v242
	v_fma_f16 v179, v240, s12, -v166
	v_add_f16_e32 v88, v179, v88
	v_mul_f16_e32 v179, 0x3b29, v241
	v_fma_f16 v166, v240, s12, v166
	v_fma_f16 v81, v81, s7, v93
	v_add_f16_e32 v89, v166, v89
	v_fma_f16 v166, v239, s12, -v179
	v_add_f16_e32 v93, v81, v79
	v_fma_f16 v79, v82, s7, -v167
	v_fma_f16 v243, v239, s12, v179
	v_add_f16_e32 v178, v166, v178
	v_mul_f16_e32 v166, 0xbbb2, v242
	v_add_f16_e32 v94, v94, v182
	v_add_f16_e32 v182, v79, v80
	v_mul_f16_e32 v80, 0xb1e1, v242
	v_mul_f16_e32 v81, 0xb1e1, v241
	v_add_f16_e32 v176, v243, v176
	v_fma_f16 v179, v240, s7, -v166
	v_mul_f16_e32 v243, 0xbbb2, v241
	v_fma_f16 v79, v240, s17, -v80
	v_fma_f16 v82, v239, s17, v81
	v_fma_f16 v80, v240, s17, v80
	v_add_f16_e32 v91, v179, v91
	v_fma_f16 v179, v239, s7, v243
	v_add_f16_e32 v244, v82, v86
	v_add_f16_e32 v82, v80, v83
	v_mul_f16_e32 v83, 0x35c8, v241
	v_add_f16_e32 v179, v179, v94
	v_fma_f16 v94, v240, s7, v166
	v_fma_f16 v166, v239, s7, -v243
	v_add_f16_e32 v79, v79, v84
	v_fma_f16 v80, v239, s17, -v81
	v_fma_f16 v84, v239, s15, v83
	v_add_f16_e32 v94, v94, v180
	v_add_f16_e32 v180, v166, v198
	v_mul_f16_e32 v166, 0x3bf7, v242
	v_add_f16_e32 v169, v80, v85
	v_add_f16_e32 v167, v84, v246
	v_fma_f16 v83, v239, s15, -v83
	v_mul_f16_e32 v84, 0xb836, v242
	v_mul_f16_e32 v85, 0xb836, v241
	v_fma_f16 v198, v240, s6, -v166
	v_add_f16_e32 v170, v83, v248
	v_fma_f16 v83, v240, s16, -v84
	v_fma_f16 v86, v239, s16, v85
	v_fma_f16 v84, v240, s16, v84
	v_add_f16_e32 v92, v198, v92
	v_mul_f16_e32 v198, 0x3bf7, v241
	v_fma_f16 v166, v240, s6, v166
	v_add_f16_e32 v171, v86, v250
	v_add_f16_e32 v86, v84, v251
	v_fma_f16 v84, v239, s16, -v85
	v_fma_f16 v241, v239, s6, v198
	v_add_f16_e32 v93, v166, v93
	v_fma_f16 v166, v239, s6, -v198
	v_mov_b32_e32 v239, v162
	v_lshl_add_u32 v198, v114, 2, v239
	v_pack_b32_f16 v114, v119, v120
	v_pack_b32_f16 v115, v219, v220
	ds_write2_b32 v198, v114, v115 offset1:7
	v_pack_b32_f16 v114, v211, v212
	v_pack_b32_f16 v115, v213, v214
	ds_write2_b32 v198, v114, v115 offset0:14 offset1:21
	v_pack_b32_f16 v114, v199, v200
	v_pack_b32_f16 v115, v201, v202
	ds_write2_b32 v198, v114, v115 offset0:28 offset1:35
	;; [unrolled: 3-line block ×3, first 2 shown]
	v_pack_b32_f16 v114, v190, v191
	v_pack_b32_f16 v115, v192, v193
	;; [unrolled: 1-line block ×3, first 2 shown]
	ds_write2_b32 v198, v114, v115 offset0:56 offset1:63
	v_pack_b32_f16 v114, v188, v189
	v_pack_b32_f16 v115, v186, v187
	ds_write_b32 v198, v50 offset:448
	v_mul_u32_u24_e32 v50, 0x77, v112
	ds_write2_b32 v198, v114, v115 offset0:70 offset1:77
	v_pack_b32_f16 v114, v184, v185
	v_pack_b32_f16 v115, v126, v183
	v_add_u32_sdwa v50, v50, v113 dst_sel:DWORD dst_unused:UNUSED_PAD src0_sel:DWORD src1_sel:BYTE_0
	ds_write2_b32 v198, v114, v115 offset0:84 offset1:91
	v_pack_b32_f16 v114, v123, v124
	v_pack_b32_f16 v115, v121, v122
	v_lshl_add_u32 v183, v50, 2, v239
	v_pack_b32_f16 v50, v117, v118
	v_pack_b32_f16 v112, v237, v238
	ds_write2_b32 v198, v114, v115 offset0:98 offset1:105
	ds_write2_b32 v183, v50, v112 offset1:7
	v_pack_b32_f16 v50, v233, v234
	v_pack_b32_f16 v112, v235, v236
	ds_write2_b32 v183, v50, v112 offset0:14 offset1:21
	v_pack_b32_f16 v50, v229, v230
	v_pack_b32_f16 v112, v231, v232
	ds_write2_b32 v183, v50, v112 offset0:28 offset1:35
	v_pack_b32_f16 v50, v225, v226
	v_pack_b32_f16 v112, v227, v228
	ds_write2_b32 v183, v50, v112 offset0:42 offset1:49
	v_pack_b32_f16 v50, v221, v222
	v_pack_b32_f16 v112, v223, v224
	ds_write2_b32 v183, v50, v112 offset0:56 offset1:63
	v_pack_b32_f16 v50, v217, v218
	v_pack_b32_f16 v112, v215, v216
	v_mul_f16_e32 v81, 0x35c8, v242
	v_mul_f16_e32 v85, 0x3964, v242
	ds_write2_b32 v183, v50, v112 offset0:70 offset1:77
	v_pack_b32_f16 v50, v209, v210
	v_pack_b32_f16 v112, v207, v208
	v_fma_f16 v80, v240, s15, -v81
	v_fma_f16 v81, v240, s15, v81
	v_add_f16_e32 v173, v84, v252
	v_fma_f16 v84, v240, s13, -v85
	v_fma_f16 v85, v240, s13, v85
	ds_write2_b32 v183, v50, v112 offset0:84 offset1:91
	v_pack_b32_f16 v50, v205, v206
	v_pack_b32_f16 v112, v203, v204
	v_add_f16_e32 v80, v80, v245
	v_add_f16_e32 v81, v81, v247
	;; [unrolled: 1-line block ×8, first 2 shown]
	ds_write2_b32 v183, v50, v112 offset0:98 offset1:105
	v_pack_b32_f16 v50, v51, v125
	ds_write_b32 v183, v50 offset:448
	s_and_saveexec_b64 s[6:7], vcc
	s_cbranch_execz .LBB0_5
; %bb.4:
	buffer_load_dword v50, off, s[36:39], 0 ; 4-byte Folded Reload
	v_add_f16_e32 v48, v48, v56
	v_add_f16_e32 v49, v96, v49
	v_add_f16_e32 v48, v48, v58
	v_add_f16_e32 v49, v49, v52
	v_add_f16_e32 v48, v48, v60
	v_add_f16_e32 v49, v49, v53
	v_add_f16_e32 v48, v48, v62
	v_add_f16_e32 v49, v49, v54
	v_add_f16_e32 v48, v48, v64
	v_add_f16_e32 v49, v49, v55
	v_add_f16_e32 v48, v48, v66
	v_add_f16_e32 v49, v49, v57
	v_add_f16_e32 v48, v48, v70
	v_add_f16_e32 v49, v49, v59
	v_add_f16_e32 v48, v48, v71
	v_add_f16_e32 v49, v49, v61
	v_add_f16_e32 v48, v48, v74
	v_add_f16_e32 v49, v49, v63
	v_add_f16_e32 v48, v48, v75
	v_add_f16_e32 v49, v49, v65
	v_add_f16_e32 v48, v48, v97
	v_add_f16_e32 v49, v49, v67
	v_add_f16_e32 v48, v48, v107
	v_add_f16_e32 v49, v49, v68
	v_add_f16_e32 v48, v48, v108
	v_add_f16_e32 v49, v49, v69
	v_add_f16_e32 v48, v48, v109
	v_add_f16_e32 v49, v49, v72
	v_add_f16_e32 v48, v48, v110
	v_add_f16_e32 v49, v49, v73
	v_add_f16_e32 v48, v48, v111
	v_add_f16_e32 v49, v49, v98
	s_mov_b32 s12, 0x5040100
	v_pack_b32_f16 v48, v48, v49
	v_perm_b32 v49, v244, v79, s12
	s_waitcnt vmcnt(0)
	v_and_b32_e32 v50, 0xff, v50
	v_lshl_add_u32 v50, v50, 2, v239
	v_add_u32_e32 v51, 0x400, v50
	ds_write2_b32 v51, v48, v49 offset0:220 offset1:227
	v_perm_b32 v48, v167, v80, s12
	v_perm_b32 v49, v171, v83, s12
	ds_write2_b32 v51, v48, v49 offset0:234 offset1:241
	v_perm_b32 v48, v172, v84, s12
	v_perm_b32 v49, v175, v87, s12
	ds_write2_b32 v51, v48, v49 offset0:248 offset1:255
	v_perm_b32 v48, v176, v88, s12
	v_perm_b32 v49, v179, v91, s12
	v_add_u32_e32 v51, 0x800, v50
	ds_write2_b32 v51, v48, v49 offset0:6 offset1:13
	v_perm_b32 v48, v181, v92, s12
	v_perm_b32 v49, v182, v93, s12
	ds_write2_b32 v51, v48, v49 offset0:20 offset1:27
	v_perm_b32 v48, v180, v94, s12
	v_perm_b32 v49, v178, v89, s12
	;; [unrolled: 3-line block ×4, first 2 shown]
	ds_write2_b32 v51, v48, v49 offset0:62 offset1:69
	v_perm_b32 v48, v169, v82, s12
	ds_write_b32 v50, v48 offset:2352
.LBB0_5:
	s_or_b64 exec, exec, s[6:7]
	v_lshlrev_b32_e32 v72, 4, v163
	s_waitcnt lgkmcnt(0)
	; wave barrier
	s_waitcnt lgkmcnt(0)
	global_load_dwordx4 v[48:51], v72, s[2:3] offset:448
	v_lshlrev_b32_e32 v52, 4, v95
	global_load_dwordx4 v[52:55], v52, s[2:3] offset:448
	v_add_u32_e32 v185, 0x400, v127
	v_lshlrev_b32_e32 v56, 4, v104
	ds_read2_b32 v[108:109], v127 offset1:17
	ds_read2_b32 v[95:96], v127 offset0:102 offset1:119
	ds_read2_b32 v[110:111], v127 offset0:238 offset1:255
	;; [unrolled: 1-line block ×7, first 2 shown]
	ds_read_b32 v126, v127 offset:2312
	v_lshlrev_b32_e32 v57, 4, v106
	v_lshlrev_b32_e32 v58, 4, v105
	ds_read2_b32 v[105:106], v185 offset0:84 offset1:101
	ds_read2_b32 v[120:121], v185 offset0:220 offset1:237
	;; [unrolled: 1-line block ×3, first 2 shown]
	global_load_dwordx4 v[68:71], v56, s[2:3] offset:448
	v_add_u32_e32 v107, 0x600, v127
	v_add_u32_e32 v186, 0x800, v127
	ds_read2_b32 v[124:125], v185 offset0:16 offset1:33
	ds_read2_b32 v[187:188], v107 offset0:126 offset1:143
	;; [unrolled: 1-line block ×6, first 2 shown]
	global_load_dwordx4 v[60:63], v57, s[2:3] offset:448
	v_add_u32_e32 v56, 0x550, v72
	global_load_dwordx4 v[64:67], v58, s[2:3] offset:448
	s_nop 0
	global_load_dwordx4 v[56:59], v56, s[2:3] offset:448
	s_waitcnt lgkmcnt(14)
	v_lshrrev_b32_e32 v73, 16, v96
	v_lshrrev_b32_e32 v74, 16, v110
	s_waitcnt lgkmcnt(7)
	v_lshrrev_b32_e32 v210, 16, v120
	v_lshrrev_b32_e32 v75, 16, v106
	v_add_u32_e32 v72, 0x660, v72
	v_lshrrev_b32_e32 v197, 16, v112
	v_lshrrev_b32_e32 v199, 16, v111
	s_waitcnt lgkmcnt(6)
	v_lshrrev_b32_e32 v211, 16, v122
	v_lshrrev_b32_e32 v212, 16, v121
	;; [unrolled: 1-line block ×3, first 2 shown]
	s_waitcnt lgkmcnt(5)
	v_lshrrev_b32_e32 v213, 16, v124
	v_lshrrev_b32_e32 v214, 16, v123
	s_waitcnt lgkmcnt(4)
	v_lshrrev_b32_e32 v215, 16, v187
	v_lshrrev_b32_e32 v203, 16, v116
	v_lshrrev_b32_e32 v216, 16, v125
	s_waitcnt lgkmcnt(3)
	v_lshrrev_b32_e32 v217, 16, v189
	;; [unrolled: 4-line block ×3, first 2 shown]
	v_lshrrev_b32_e32 v220, 16, v190
	s_waitcnt lgkmcnt(1)
	v_lshrrev_b32_e32 v221, 16, v193
	v_lshrrev_b32_e32 v207, 16, v118
	;; [unrolled: 1-line block ×3, first 2 shown]
	s_waitcnt lgkmcnt(0)
	v_lshrrev_b32_e32 v223, 16, v195
	v_lshrrev_b32_e32 v224, 16, v194
	;; [unrolled: 1-line block ×5, first 2 shown]
	s_mov_b32 s7, 0xbb9c
	v_lshrrev_b32_e32 v209, 16, v126
	s_mov_b32 s12, 0xb8b4
	s_movk_i32 s6, 0x34f2
	v_lshrrev_b32_e32 v166, 16, v108
	v_lshrrev_b32_e32 v184, 16, v109
	;; [unrolled: 1-line block ×7, first 2 shown]
	v_lshl_add_u32 v168, v163, 2, v239
	s_add_u32 s0, s0, 0x94c
	s_addc_u32 s1, s1, 0
	s_mov_b32 s13, 0xbb00
	s_movk_i32 s14, 0x3cab
	s_waitcnt vmcnt(5)
	v_mul_f16_sdwa v227, v73, v48 dst_sel:DWORD dst_unused:UNUSED_PAD src0_sel:DWORD src1_sel:WORD_1
	v_mul_f16_sdwa v228, v96, v48 dst_sel:DWORD dst_unused:UNUSED_PAD src0_sel:DWORD src1_sel:WORD_1
	;; [unrolled: 1-line block ×6, first 2 shown]
	v_fma_f16 v96, v96, v48, -v227
	v_fma_f16 v227, v73, v48, v228
	v_mul_f16_sdwa v73, v120, v51 dst_sel:DWORD dst_unused:UNUSED_PAD src0_sel:DWORD src1_sel:WORD_1
	v_mul_f16_sdwa v231, v75, v50 dst_sel:DWORD dst_unused:UNUSED_PAD src0_sel:DWORD src1_sel:WORD_1
	v_fma_f16 v110, v110, v49, -v229
	v_fma_f16 v228, v74, v49, v230
	v_fma_f16 v229, v75, v50, v232
	v_fma_f16 v230, v120, v51, -v233
	v_fma_f16 v120, v210, v51, v73
	global_load_dwordx4 v[72:75], v72, s[2:3] offset:448
	s_waitcnt vmcnt(5)
	v_mul_f16_sdwa v210, v197, v52 dst_sel:DWORD dst_unused:UNUSED_PAD src0_sel:DWORD src1_sel:WORD_1
	v_fma_f16 v210, v112, v52, -v210
	v_mul_f16_sdwa v112, v112, v52 dst_sel:DWORD dst_unused:UNUSED_PAD src0_sel:DWORD src1_sel:WORD_1
	v_fma_f16 v112, v197, v52, v112
	v_mul_f16_sdwa v197, v199, v53 dst_sel:DWORD dst_unused:UNUSED_PAD src0_sel:DWORD src1_sel:WORD_1
	v_fma_f16 v197, v111, v53, -v197
	v_mul_f16_sdwa v111, v111, v53 dst_sel:DWORD dst_unused:UNUSED_PAD src0_sel:DWORD src1_sel:WORD_1
	v_fma_f16 v111, v199, v53, v111
	v_mul_f16_sdwa v199, v211, v54 dst_sel:DWORD dst_unused:UNUSED_PAD src0_sel:DWORD src1_sel:WORD_1
	v_fma_f16 v199, v122, v54, -v199
	v_mul_f16_sdwa v122, v122, v54 dst_sel:DWORD dst_unused:UNUSED_PAD src0_sel:DWORD src1_sel:WORD_1
	v_fma_f16 v122, v211, v54, v122
	v_mul_f16_sdwa v211, v212, v55 dst_sel:DWORD dst_unused:UNUSED_PAD src0_sel:DWORD src1_sel:WORD_1
	v_fma_f16 v211, v121, v55, -v211
	v_mul_f16_sdwa v121, v121, v55 dst_sel:DWORD dst_unused:UNUSED_PAD src0_sel:DWORD src1_sel:WORD_1
	v_fma_f16 v121, v212, v55, v121
	s_waitcnt vmcnt(4)
	v_mul_f16_sdwa v212, v201, v68 dst_sel:DWORD dst_unused:UNUSED_PAD src0_sel:DWORD src1_sel:WORD_1
	v_fma_f16 v212, v113, v68, -v212
	v_mul_f16_sdwa v113, v113, v68 dst_sel:DWORD dst_unused:UNUSED_PAD src0_sel:DWORD src1_sel:WORD_1
	v_fma_f16 v113, v201, v68, v113
	v_mul_f16_sdwa v201, v213, v69 dst_sel:DWORD dst_unused:UNUSED_PAD src0_sel:DWORD src1_sel:WORD_1
	v_fma_f16 v201, v124, v69, -v201
	v_mul_f16_sdwa v124, v124, v69 dst_sel:DWORD dst_unused:UNUSED_PAD src0_sel:DWORD src1_sel:WORD_1
	v_fma_f16 v124, v213, v69, v124
	v_mul_f16_sdwa v213, v214, v70 dst_sel:DWORD dst_unused:UNUSED_PAD src0_sel:DWORD src1_sel:WORD_1
	v_fma_f16 v213, v123, v70, -v213
	v_mul_f16_sdwa v123, v123, v70 dst_sel:DWORD dst_unused:UNUSED_PAD src0_sel:DWORD src1_sel:WORD_1
	v_fma_f16 v123, v214, v70, v123
	v_mul_f16_sdwa v214, v215, v71 dst_sel:DWORD dst_unused:UNUSED_PAD src0_sel:DWORD src1_sel:WORD_1
	v_fma_f16 v214, v187, v71, -v214
	v_mul_f16_sdwa v187, v187, v71 dst_sel:DWORD dst_unused:UNUSED_PAD src0_sel:DWORD src1_sel:WORD_1
	v_fma_f16 v187, v215, v71, v187
	s_waitcnt vmcnt(3)
	v_mul_f16_sdwa v215, v203, v60 dst_sel:DWORD dst_unused:UNUSED_PAD src0_sel:DWORD src1_sel:WORD_1
	v_fma_f16 v215, v116, v60, -v215
	v_mul_f16_sdwa v116, v116, v60 dst_sel:DWORD dst_unused:UNUSED_PAD src0_sel:DWORD src1_sel:WORD_1
	v_fma_f16 v116, v203, v60, v116
	v_mul_f16_sdwa v203, v216, v61 dst_sel:DWORD dst_unused:UNUSED_PAD src0_sel:DWORD src1_sel:WORD_1
	v_fma_f16 v203, v125, v61, -v203
	v_mul_f16_sdwa v125, v125, v61 dst_sel:DWORD dst_unused:UNUSED_PAD src0_sel:DWORD src1_sel:WORD_1
	v_fma_f16 v125, v216, v61, v125
	v_mul_f16_sdwa v216, v217, v62 dst_sel:DWORD dst_unused:UNUSED_PAD src0_sel:DWORD src1_sel:WORD_1
	v_fma_f16 v216, v189, v62, -v216
	v_mul_f16_sdwa v189, v189, v62 dst_sel:DWORD dst_unused:UNUSED_PAD src0_sel:DWORD src1_sel:WORD_1
	v_fma_f16 v189, v217, v62, v189
	v_mul_f16_sdwa v217, v218, v63 dst_sel:DWORD dst_unused:UNUSED_PAD src0_sel:DWORD src1_sel:WORD_1
	v_fma_f16 v217, v188, v63, -v217
	v_mul_f16_sdwa v188, v188, v63 dst_sel:DWORD dst_unused:UNUSED_PAD src0_sel:DWORD src1_sel:WORD_1
	v_fma_f16 v188, v218, v63, v188
	s_waitcnt vmcnt(2)
	v_mul_f16_sdwa v218, v205, v64 dst_sel:DWORD dst_unused:UNUSED_PAD src0_sel:DWORD src1_sel:WORD_1
	v_fma_f16 v218, v117, v64, -v218
	v_mul_f16_sdwa v117, v117, v64 dst_sel:DWORD dst_unused:UNUSED_PAD src0_sel:DWORD src1_sel:WORD_1
	v_fma_f16 v117, v205, v64, v117
	v_mul_f16_sdwa v205, v219, v65 dst_sel:DWORD dst_unused:UNUSED_PAD src0_sel:DWORD src1_sel:WORD_1
	v_fma_f16 v205, v191, v65, -v205
	v_mul_f16_sdwa v191, v191, v65 dst_sel:DWORD dst_unused:UNUSED_PAD src0_sel:DWORD src1_sel:WORD_1
	v_fma_f16 v191, v219, v65, v191
	v_mul_f16_sdwa v219, v220, v66 dst_sel:DWORD dst_unused:UNUSED_PAD src0_sel:DWORD src1_sel:WORD_1
	v_fma_f16 v219, v190, v66, -v219
	v_mul_f16_sdwa v190, v190, v66 dst_sel:DWORD dst_unused:UNUSED_PAD src0_sel:DWORD src1_sel:WORD_1
	v_fma_f16 v190, v220, v66, v190
	v_mul_f16_sdwa v220, v221, v67 dst_sel:DWORD dst_unused:UNUSED_PAD src0_sel:DWORD src1_sel:WORD_1
	v_fma_f16 v220, v193, v67, -v220
	v_mul_f16_sdwa v193, v193, v67 dst_sel:DWORD dst_unused:UNUSED_PAD src0_sel:DWORD src1_sel:WORD_1
	v_fma_f16 v193, v221, v67, v193
	s_waitcnt vmcnt(1)
	v_mul_f16_sdwa v221, v207, v56 dst_sel:DWORD dst_unused:UNUSED_PAD src0_sel:DWORD src1_sel:WORD_1
	v_fma_f16 v221, v118, v56, -v221
	v_mul_f16_sdwa v118, v118, v56 dst_sel:DWORD dst_unused:UNUSED_PAD src0_sel:DWORD src1_sel:WORD_1
	v_fma_f16 v118, v207, v56, v118
	v_mul_f16_sdwa v207, v222, v57 dst_sel:DWORD dst_unused:UNUSED_PAD src0_sel:DWORD src1_sel:WORD_1
	v_fma_f16 v207, v192, v57, -v207
	v_mul_f16_sdwa v192, v192, v57 dst_sel:DWORD dst_unused:UNUSED_PAD src0_sel:DWORD src1_sel:WORD_1
	v_fma_f16 v192, v222, v57, v192
	v_mul_f16_sdwa v222, v223, v58 dst_sel:DWORD dst_unused:UNUSED_PAD src0_sel:DWORD src1_sel:WORD_1
	v_fma_f16 v222, v195, v58, -v222
	v_mul_f16_sdwa v195, v195, v58 dst_sel:DWORD dst_unused:UNUSED_PAD src0_sel:DWORD src1_sel:WORD_1
	v_fma_f16 v195, v223, v58, v195
	v_mul_f16_sdwa v223, v224, v59 dst_sel:DWORD dst_unused:UNUSED_PAD src0_sel:DWORD src1_sel:WORD_1
	v_fma_f16 v223, v194, v59, -v223
	v_mul_f16_sdwa v194, v194, v59 dst_sel:DWORD dst_unused:UNUSED_PAD src0_sel:DWORD src1_sel:WORD_1
	v_fma_f16 v194, v224, v59, v194
	s_waitcnt vmcnt(0)
	v_mul_f16_sdwa v224, v208, v72 dst_sel:DWORD dst_unused:UNUSED_PAD src0_sel:DWORD src1_sel:WORD_1
	v_fma_f16 v224, v119, v72, -v224
	v_mul_f16_sdwa v119, v119, v72 dst_sel:DWORD dst_unused:UNUSED_PAD src0_sel:DWORD src1_sel:WORD_1
	v_fma_f16 v106, v106, v50, -v231
	v_fma_f16 v119, v208, v72, v119
	v_mul_f16_sdwa v208, v225, v73 dst_sel:DWORD dst_unused:UNUSED_PAD src0_sel:DWORD src1_sel:WORD_1
	v_fma_f16 v208, v105, v73, -v208
	v_mul_f16_sdwa v105, v105, v73 dst_sel:DWORD dst_unused:UNUSED_PAD src0_sel:DWORD src1_sel:WORD_1
	v_add_f16_e32 v231, v110, v106
	v_fma_f16 v105, v225, v73, v105
	v_mul_f16_sdwa v225, v226, v74 dst_sel:DWORD dst_unused:UNUSED_PAD src0_sel:DWORD src1_sel:WORD_1
	v_fma_f16 v231, v231, -0.5, v108
	v_sub_f16_e32 v232, v227, v120
	s_movk_i32 s3, 0x3b9c
	v_fma_f16 v225, v196, v74, -v225
	v_mul_f16_sdwa v196, v196, v74 dst_sel:DWORD dst_unused:UNUSED_PAD src0_sel:DWORD src1_sel:WORD_1
	v_fma_f16 v233, v232, s3, v231
	v_sub_f16_e32 v234, v228, v229
	s_movk_i32 s2, 0x38b4
	v_sub_f16_e32 v235, v96, v110
	v_sub_f16_e32 v236, v230, v106
	v_fma_f16 v231, v232, s7, v231
	v_fma_f16 v196, v226, v74, v196
	v_mul_f16_sdwa v226, v209, v75 dst_sel:DWORD dst_unused:UNUSED_PAD src0_sel:DWORD src1_sel:WORD_1
	v_fma_f16 v233, v234, s2, v233
	v_add_f16_e32 v235, v235, v236
	v_fma_f16 v231, v234, s12, v231
	v_fma_f16 v226, v126, v75, -v226
	v_mul_f16_sdwa v126, v126, v75 dst_sel:DWORD dst_unused:UNUSED_PAD src0_sel:DWORD src1_sel:WORD_1
	v_fma_f16 v233, v235, s6, v233
	v_fma_f16 v231, v235, s6, v231
	v_add_f16_e32 v235, v96, v230
	v_fma_f16 v126, v209, v75, v126
	v_add_f16_e32 v209, v108, v96
	v_fma_f16 v108, v235, -0.5, v108
	v_add_f16_e32 v209, v209, v110
	v_fma_f16 v235, v234, s7, v108
	v_fma_f16 v108, v234, s3, v108
	v_add_f16_e32 v234, v228, v229
	v_add_f16_e32 v209, v209, v106
	v_sub_f16_e32 v236, v110, v96
	v_sub_f16_e32 v237, v106, v230
	v_fma_f16 v234, v234, -0.5, v166
	v_sub_f16_e32 v96, v96, v230
	v_add_f16_e32 v209, v209, v230
	v_fma_f16 v235, v232, s2, v235
	v_add_f16_e32 v236, v236, v237
	v_fma_f16 v108, v232, s12, v108
	v_fma_f16 v230, v96, s7, v234
	v_sub_f16_e32 v106, v110, v106
	v_fma_f16 v235, v236, s6, v235
	v_fma_f16 v108, v236, s6, v108
	;; [unrolled: 1-line block ×3, first 2 shown]
	v_sub_f16_e32 v230, v227, v228
	v_sub_f16_e32 v236, v120, v229
	v_fma_f16 v234, v96, s3, v234
	v_add_f16_e32 v232, v166, v227
	v_add_f16_e32 v230, v230, v236
	v_fma_f16 v234, v106, s2, v234
	v_add_f16_e32 v232, v232, v228
	v_fma_f16 v110, v230, s6, v110
	v_fma_f16 v230, v230, s6, v234
	v_add_f16_e32 v234, v227, v120
	v_add_f16_e32 v232, v232, v229
	v_fma_f16 v166, v234, -0.5, v166
	v_add_f16_e32 v232, v232, v120
	v_fma_f16 v234, v106, s3, v166
	v_sub_f16_e32 v227, v228, v227
	v_sub_f16_e32 v120, v229, v120
	v_fma_f16 v106, v106, s7, v166
	v_fma_f16 v234, v96, s12, v234
	v_add_f16_e32 v120, v227, v120
	v_fma_f16 v96, v96, s2, v106
	v_fma_f16 v227, v120, s6, v234
	;; [unrolled: 1-line block ×3, first 2 shown]
	v_add_f16_e32 v120, v197, v199
	v_fma_f16 v120, v120, -0.5, v109
	v_sub_f16_e32 v166, v112, v121
	v_fma_f16 v228, v166, s3, v120
	v_sub_f16_e32 v229, v111, v122
	v_sub_f16_e32 v234, v210, v197
	v_sub_f16_e32 v236, v211, v199
	v_fma_f16 v120, v166, s7, v120
	v_fma_f16 v228, v229, s2, v228
	v_add_f16_e32 v234, v234, v236
	v_fma_f16 v120, v229, s12, v120
	v_fma_f16 v228, v234, s6, v228
	;; [unrolled: 1-line block ×3, first 2 shown]
	v_add_f16_e32 v234, v210, v211
	v_add_f16_e32 v106, v109, v210
	v_fma_f16 v109, v234, -0.5, v109
	v_add_f16_e32 v106, v106, v197
	v_fma_f16 v234, v229, s7, v109
	v_fma_f16 v109, v229, s3, v109
	v_add_f16_e32 v229, v111, v122
	v_add_f16_e32 v106, v106, v199
	v_sub_f16_e32 v236, v197, v210
	v_sub_f16_e32 v237, v199, v211
	v_fma_f16 v229, v229, -0.5, v184
	v_sub_f16_e32 v210, v210, v211
	v_add_f16_e32 v106, v106, v211
	v_fma_f16 v234, v166, s2, v234
	v_add_f16_e32 v236, v236, v237
	v_fma_f16 v109, v166, s12, v109
	v_fma_f16 v211, v210, s7, v229
	v_sub_f16_e32 v197, v197, v199
	v_fma_f16 v234, v236, s6, v234
	v_fma_f16 v109, v236, s6, v109
	;; [unrolled: 1-line block ×3, first 2 shown]
	v_sub_f16_e32 v211, v112, v111
	v_sub_f16_e32 v236, v121, v122
	v_fma_f16 v229, v210, s3, v229
	v_add_f16_e32 v211, v211, v236
	v_fma_f16 v229, v197, s2, v229
	v_add_f16_e32 v166, v184, v112
	v_fma_f16 v199, v211, s6, v199
	v_fma_f16 v211, v211, s6, v229
	v_add_f16_e32 v229, v112, v121
	v_add_f16_e32 v166, v166, v111
	v_fma_f16 v184, v229, -0.5, v184
	v_add_f16_e32 v166, v166, v122
	v_fma_f16 v229, v197, s3, v184
	v_sub_f16_e32 v111, v111, v112
	v_sub_f16_e32 v112, v122, v121
	v_add_f16_e32 v122, v201, v213
	v_add_f16_e32 v166, v166, v121
	v_fma_f16 v229, v210, s12, v229
	v_add_f16_e32 v111, v111, v112
	v_fma_f16 v121, v197, s7, v184
	v_fma_f16 v122, v122, -0.5, v114
	v_sub_f16_e32 v184, v113, v187
	v_fma_f16 v112, v111, s6, v229
	v_fma_f16 v121, v210, s2, v121
	;; [unrolled: 1-line block ×3, first 2 shown]
	v_sub_f16_e32 v210, v124, v123
	v_sub_f16_e32 v229, v212, v201
	;; [unrolled: 1-line block ×3, first 2 shown]
	v_fma_f16 v122, v184, s7, v122
	v_fma_f16 v197, v210, s2, v197
	v_add_f16_e32 v229, v229, v236
	v_fma_f16 v122, v210, s12, v122
	v_fma_f16 v197, v229, s6, v197
	;; [unrolled: 1-line block ×3, first 2 shown]
	v_add_f16_e32 v229, v212, v214
	v_fma_f16 v111, v111, s6, v121
	v_add_f16_e32 v121, v114, v212
	v_fma_f16 v114, v229, -0.5, v114
	v_fma_f16 v229, v210, s7, v114
	v_fma_f16 v114, v210, s3, v114
	;; [unrolled: 1-line block ×4, first 2 shown]
	v_add_f16_e32 v184, v200, v113
	v_add_f16_e32 v184, v184, v124
	;; [unrolled: 1-line block ×7, first 2 shown]
	v_sub_f16_e32 v236, v201, v212
	v_sub_f16_e32 v237, v213, v214
	v_fma_f16 v184, v184, -0.5, v200
	v_sub_f16_e32 v212, v212, v214
	v_add_f16_e32 v121, v121, v214
	v_add_f16_e32 v236, v236, v237
	v_fma_f16 v214, v212, s7, v184
	v_sub_f16_e32 v201, v201, v213
	v_fma_f16 v229, v236, s6, v229
	v_fma_f16 v114, v236, s6, v114
	;; [unrolled: 1-line block ×3, first 2 shown]
	v_sub_f16_e32 v214, v113, v124
	v_sub_f16_e32 v236, v187, v123
	v_fma_f16 v184, v212, s3, v184
	v_add_f16_e32 v214, v214, v236
	v_fma_f16 v184, v201, s2, v184
	v_fma_f16 v213, v214, s6, v213
	;; [unrolled: 1-line block ×3, first 2 shown]
	v_add_f16_e32 v184, v113, v187
	v_fma_f16 v184, v184, -0.5, v200
	v_fma_f16 v200, v201, s3, v184
	v_sub_f16_e32 v113, v124, v113
	v_sub_f16_e32 v123, v123, v187
	v_fma_f16 v124, v201, s7, v184
	v_add_f16_e32 v184, v203, v216
	v_fma_f16 v200, v212, s12, v200
	v_add_f16_e32 v113, v113, v123
	v_fma_f16 v184, v184, -0.5, v115
	v_sub_f16_e32 v187, v116, v188
	v_fma_f16 v123, v113, s6, v200
	v_fma_f16 v124, v212, s2, v124
	;; [unrolled: 1-line block ×3, first 2 shown]
	v_sub_f16_e32 v201, v125, v189
	v_sub_f16_e32 v212, v215, v203
	;; [unrolled: 1-line block ×3, first 2 shown]
	v_fma_f16 v184, v187, s7, v184
	v_fma_f16 v200, v201, s2, v200
	v_add_f16_e32 v212, v212, v236
	v_fma_f16 v184, v201, s12, v184
	v_fma_f16 v200, v212, s6, v200
	;; [unrolled: 1-line block ×3, first 2 shown]
	v_add_f16_e32 v184, v215, v217
	v_fma_f16 v113, v113, s6, v124
	v_add_f16_e32 v124, v115, v215
	v_fma_f16 v115, v184, -0.5, v115
	v_fma_f16 v184, v201, s7, v115
	v_sub_f16_e32 v236, v203, v215
	v_sub_f16_e32 v237, v216, v217
	v_fma_f16 v184, v187, s2, v184
	v_add_f16_e32 v236, v236, v237
	v_fma_f16 v237, v236, s6, v184
	v_add_f16_e32 v184, v202, v116
	v_add_f16_e32 v184, v184, v125
	v_fma_f16 v115, v201, s3, v115
	v_add_f16_e32 v184, v184, v189
	;; [unrolled: 3-line block ×3, first 2 shown]
	v_add_f16_e32 v184, v125, v189
	v_add_f16_e32 v124, v124, v216
	v_fma_f16 v184, v184, -0.5, v202
	v_sub_f16_e32 v201, v215, v217
	v_add_f16_e32 v124, v124, v217
	v_fma_f16 v215, v201, s7, v184
	v_sub_f16_e32 v203, v203, v216
	v_sub_f16_e32 v216, v116, v125
	;; [unrolled: 1-line block ×3, first 2 shown]
	v_fma_f16 v184, v201, s3, v184
	v_fma_f16 v215, v203, s12, v215
	v_add_f16_e32 v216, v216, v217
	v_fma_f16 v184, v203, s2, v184
	v_fma_f16 v215, v216, s6, v215
	;; [unrolled: 1-line block ×3, first 2 shown]
	v_add_f16_e32 v184, v116, v188
	v_fma_f16 v184, v184, -0.5, v202
	v_fma_f16 v202, v203, s3, v184
	v_sub_f16_e32 v116, v125, v116
	v_sub_f16_e32 v125, v189, v188
	v_fma_f16 v184, v203, s7, v184
	v_fma_f16 v202, v201, s12, v202
	v_add_f16_e32 v116, v116, v125
	v_fma_f16 v184, v201, s2, v184
	v_fma_f16 v125, v116, s6, v202
	;; [unrolled: 1-line block ×3, first 2 shown]
	v_add_f16_e32 v184, v97, v218
	v_add_f16_e32 v184, v184, v205
	;; [unrolled: 1-line block ×5, first 2 shown]
	v_fma_f16 v184, v184, -0.5, v97
	v_sub_f16_e32 v189, v117, v193
	v_fma_f16 v201, v189, s3, v184
	v_sub_f16_e32 v202, v191, v190
	v_sub_f16_e32 v203, v218, v205
	v_sub_f16_e32 v217, v220, v219
	v_fma_f16 v184, v189, s7, v184
	v_fma_f16 v201, v202, s2, v201
	v_add_f16_e32 v203, v203, v217
	v_fma_f16 v184, v202, s12, v184
	v_fma_f16 v201, v203, s6, v201
	;; [unrolled: 1-line block ×3, first 2 shown]
	v_add_f16_e32 v184, v218, v220
	v_fma_f16 v97, v184, -0.5, v97
	v_fma_f16 v115, v236, s6, v115
	v_fma_f16 v184, v202, s7, v97
	v_sub_f16_e32 v217, v205, v218
	v_sub_f16_e32 v236, v219, v220
	v_fma_f16 v184, v189, s2, v184
	v_add_f16_e32 v217, v217, v236
	v_fma_f16 v236, v217, s6, v184
	v_add_f16_e32 v184, v204, v117
	v_add_f16_e32 v184, v184, v191
	v_fma_f16 v97, v202, s3, v97
	v_add_f16_e32 v184, v184, v190
	v_fma_f16 v97, v189, s12, v97
	v_add_f16_e32 v189, v184, v193
	v_add_f16_e32 v184, v191, v190
	v_fma_f16 v184, v184, -0.5, v204
	v_sub_f16_e32 v202, v218, v220
	v_fma_f16 v97, v217, s6, v97
	v_fma_f16 v217, v202, s7, v184
	v_sub_f16_e32 v205, v205, v219
	v_sub_f16_e32 v218, v117, v191
	;; [unrolled: 1-line block ×3, first 2 shown]
	v_fma_f16 v184, v202, s3, v184
	v_fma_f16 v217, v205, s12, v217
	v_add_f16_e32 v218, v218, v219
	v_fma_f16 v184, v205, s2, v184
	v_fma_f16 v217, v218, s6, v217
	;; [unrolled: 1-line block ×3, first 2 shown]
	v_add_f16_e32 v184, v117, v193
	v_fma_f16 v184, v184, -0.5, v204
	v_fma_f16 v204, v205, s3, v184
	v_sub_f16_e32 v117, v191, v117
	v_sub_f16_e32 v190, v190, v193
	v_fma_f16 v184, v205, s7, v184
	v_fma_f16 v204, v202, s12, v204
	v_add_f16_e32 v117, v117, v190
	v_fma_f16 v184, v202, s2, v184
	v_fma_f16 v190, v117, s6, v204
	;; [unrolled: 1-line block ×3, first 2 shown]
	v_add_f16_e32 v184, v98, v221
	v_add_f16_e32 v184, v184, v207
	;; [unrolled: 1-line block ×5, first 2 shown]
	v_fma_f16 v184, v184, -0.5, v98
	v_sub_f16_e32 v193, v118, v194
	v_fma_f16 v202, v193, s3, v184
	v_sub_f16_e32 v204, v192, v195
	v_sub_f16_e32 v205, v221, v207
	;; [unrolled: 1-line block ×3, first 2 shown]
	v_fma_f16 v184, v193, s7, v184
	v_fma_f16 v202, v204, s2, v202
	v_add_f16_e32 v205, v205, v219
	v_fma_f16 v184, v204, s12, v184
	v_fma_f16 v202, v205, s6, v202
	;; [unrolled: 1-line block ×3, first 2 shown]
	v_add_f16_e32 v184, v221, v223
	v_fma_f16 v98, v184, -0.5, v98
	v_fma_f16 v184, v204, s7, v98
	v_sub_f16_e32 v219, v207, v221
	v_sub_f16_e32 v220, v222, v223
	v_fma_f16 v184, v193, s2, v184
	v_add_f16_e32 v219, v219, v220
	v_fma_f16 v220, v219, s6, v184
	v_add_f16_e32 v184, v206, v118
	v_add_f16_e32 v184, v184, v192
	v_fma_f16 v98, v204, s3, v98
	v_add_f16_e32 v184, v184, v195
	v_fma_f16 v98, v193, s12, v98
	v_add_f16_e32 v193, v184, v194
	v_add_f16_e32 v184, v192, v195
	v_fma_f16 v184, v184, -0.5, v206
	v_sub_f16_e32 v204, v221, v223
	v_fma_f16 v98, v219, s6, v98
	v_fma_f16 v219, v204, s7, v184
	v_sub_f16_e32 v207, v207, v222
	v_sub_f16_e32 v221, v118, v192
	;; [unrolled: 1-line block ×3, first 2 shown]
	v_fma_f16 v184, v204, s3, v184
	v_fma_f16 v219, v207, s12, v219
	v_add_f16_e32 v221, v221, v222
	v_fma_f16 v184, v207, s2, v184
	v_fma_f16 v219, v221, s6, v219
	;; [unrolled: 1-line block ×3, first 2 shown]
	v_add_f16_e32 v184, v118, v194
	v_fma_f16 v184, v184, -0.5, v206
	v_fma_f16 v206, v207, s3, v184
	v_sub_f16_e32 v118, v192, v118
	v_sub_f16_e32 v192, v195, v194
	v_fma_f16 v184, v207, s7, v184
	v_fma_f16 v206, v204, s12, v206
	v_add_f16_e32 v118, v118, v192
	v_fma_f16 v184, v204, s2, v184
	v_fma_f16 v192, v118, s6, v206
	;; [unrolled: 1-line block ×3, first 2 shown]
	v_add_f16_e32 v184, v95, v224
	v_add_f16_e32 v184, v184, v208
	;; [unrolled: 1-line block ×5, first 2 shown]
	v_fma_f16 v184, v184, -0.5, v95
	v_sub_f16_e32 v195, v119, v126
	v_fma_f16 v204, v195, s3, v184
	v_sub_f16_e32 v206, v105, v196
	v_sub_f16_e32 v207, v224, v208
	;; [unrolled: 1-line block ×3, first 2 shown]
	v_fma_f16 v184, v195, s7, v184
	v_fma_f16 v204, v206, s2, v204
	v_add_f16_e32 v207, v207, v222
	v_fma_f16 v184, v206, s12, v184
	v_fma_f16 v204, v207, s6, v204
	;; [unrolled: 1-line block ×3, first 2 shown]
	v_add_f16_e32 v184, v224, v226
	v_fma_f16 v95, v184, -0.5, v95
	v_fma_f16 v184, v206, s7, v95
	v_sub_f16_e32 v222, v208, v224
	v_sub_f16_e32 v223, v225, v226
	v_fma_f16 v184, v195, s2, v184
	v_add_f16_e32 v222, v222, v223
	v_fma_f16 v223, v222, s6, v184
	v_fma_f16 v95, v206, s3, v95
	v_add_f16_e32 v184, v105, v196
	v_fma_f16 v95, v195, s12, v95
	v_fma_f16 v184, v184, -0.5, v104
	v_sub_f16_e32 v206, v224, v226
	v_fma_f16 v195, v222, s6, v95
	v_fma_f16 v222, v206, s7, v184
	v_sub_f16_e32 v208, v208, v225
	v_sub_f16_e32 v224, v119, v105
	;; [unrolled: 1-line block ×3, first 2 shown]
	v_fma_f16 v184, v206, s3, v184
	v_fma_f16 v222, v208, s12, v222
	v_add_f16_e32 v224, v224, v225
	v_fma_f16 v184, v208, s2, v184
	v_fma_f16 v222, v224, s6, v222
	v_fma_f16 v224, v224, s6, v184
	v_add_f16_e32 v184, v119, v126
	v_add_f16_e32 v95, v104, v119
	v_fma_f16 v104, v184, -0.5, v104
	v_add_f16_e32 v95, v95, v105
	v_fma_f16 v184, v208, s3, v104
	v_sub_f16_e32 v105, v105, v119
	v_sub_f16_e32 v119, v196, v126
	v_fma_f16 v104, v208, s7, v104
	v_pack_b32_f16 v96, v108, v96
	v_fma_f16 v184, v206, s12, v184
	v_add_f16_e32 v105, v105, v119
	v_fma_f16 v104, v206, s2, v104
	v_pack_b32_f16 v110, v233, v110
	ds_write_b32 v168, v96 offset:1428
	v_pack_b32_f16 v96, v231, v230
	v_fma_f16 v119, v105, s6, v184
	v_fma_f16 v104, v105, s6, v104
	v_pack_b32_f16 v105, v209, v232
	ds_write_b32 v168, v110 offset:476
	v_pack_b32_f16 v110, v235, v227
	ds_write_b32 v168, v96 offset:1904
	;; [unrolled: 2-line block ×3, first 2 shown]
	ds_write2_b32 v127, v105, v96 offset1:17
	v_pack_b32_f16 v96, v228, v199
	ds_write_b32 v168, v96 offset:544
	v_pack_b32_f16 v96, v234, v112
	ds_write_b32 v168, v96 offset:1020
	;; [unrolled: 2-line block ×4, first 2 shown]
	v_pack_b32_f16 v96, v121, v210
	v_pack_b32_f16 v110, v124, v187
	;; [unrolled: 1-line block ×3, first 2 shown]
	ds_write2_b32 v127, v96, v110 offset0:34 offset1:51
	v_pack_b32_f16 v96, v200, v215
	v_add_f16_e32 v95, v95, v196
	v_pack_b32_f16 v108, v114, v113
	ds_write2_b32 v127, v105, v96 offset0:153 offset1:170
	v_pack_b32_f16 v96, v237, v125
	v_pack_b32_f16 v105, v115, v116
	v_pack_b32_f16 v111, v236, v190
	v_add_f16_e32 v95, v95, v126
	ds_write2_b32 v185, v108, v105 offset0:135 offset1:152
	v_pack_b32_f16 v105, v212, v216
	ds_write2_b32 v185, v96, v111 offset0:33 offset1:50
	v_pack_b32_f16 v96, v97, v117
	v_pack_b32_f16 v97, v203, v218
	;; [unrolled: 1-line block ×3, first 2 shown]
	ds_write2_b32 v186, v105, v97 offset0:15 offset1:32
	v_pack_b32_f16 v97, v191, v193
	v_pack_b32_f16 v98, v98, v118
	v_pack_b32_f16 v95, v194, v95
	v_pack_b32_f16 v106, v229, v123
	v_pack_b32_f16 v110, v201, v217
	ds_write2_b32 v127, v108, v97 offset0:68 offset1:85
	v_pack_b32_f16 v97, v202, v219
	ds_write2_b32 v185, v96, v98 offset0:169 offset1:186
	ds_write_b32 v127, v95 offset:408
	v_pack_b32_f16 v98, v204, v222
	v_add_u32_e32 v95, 0x200, v127
	ds_write2_b32 v127, v110, v97 offset0:187 offset1:204
	v_pack_b32_f16 v97, v220, v192
	ds_write2_b32 v95, v98, v106 offset0:93 offset1:144
	v_pack_b32_f16 v98, v223, v119
	v_pack_b32_f16 v109, v122, v214
	ds_write2_b32 v185, v97, v98 offset0:67 offset1:84
	v_pack_b32_f16 v97, v195, v104
	;; [unrolled: 3-line block ×3, first 2 shown]
	ds_write2_b32 v186, v96, v97 offset0:49 offset1:66
	s_waitcnt lgkmcnt(0)
	; wave barrier
	s_waitcnt lgkmcnt(0)
	global_load_dword v98, v[77:78], off offset:2380
	v_lshlrev_b32_e32 v106, 2, v163
	global_load_dword v108, v106, s[0:1] offset:340
	global_load_dword v109, v106, s[0:1] offset:680
	;; [unrolled: 1-line block ×9, first 2 shown]
	ds_read2_b32 v[77:78], v127 offset1:17
	s_movk_i32 s7, 0x3a52
	s_movk_i32 s12, 0x39e0
	s_mov_b32 s6, 0xb574
	s_movk_i32 s3, 0x3846
	s_waitcnt lgkmcnt(0)
	v_lshrrev_b32_e32 v104, 16, v77
	s_mov_b32 s2, 0xffff
	s_waitcnt vmcnt(9)
	v_mul_f16_sdwa v96, v104, v98 dst_sel:DWORD dst_unused:UNUSED_PAD src0_sel:DWORD src1_sel:WORD_1
	v_fma_f16 v105, v77, v98, -v96
	ds_read2_b32 v[96:97], v127 offset0:68 offset1:85
	global_load_dword v119, v106, s[0:1] offset:136
	global_load_dword v120, v106, s[0:1] offset:204
	;; [unrolled: 1-line block ×7, first 2 shown]
	v_mul_f16_sdwa v77, v77, v98 dst_sel:DWORD dst_unused:UNUSED_PAD src0_sel:DWORD src1_sel:WORD_1
	v_fma_f16 v77, v104, v98, v77
	s_waitcnt lgkmcnt(0)
	v_lshrrev_b32_e32 v98, 16, v97
	s_waitcnt vmcnt(15)
	v_mul_f16_sdwa v104, v98, v108 dst_sel:DWORD dst_unused:UNUSED_PAD src0_sel:DWORD src1_sel:WORD_1
	v_pack_b32_f16 v77, v105, v77
	v_fma_f16 v111, v97, v108, -v104
	ds_read2_b32 v[104:105], v127 offset0:170 offset1:187
	global_load_dword v166, v106, s[0:1] offset:816
	global_load_dword v187, v106, s[0:1] offset:884
	;; [unrolled: 1-line block ×6, first 2 shown]
	v_mul_f16_sdwa v97, v97, v108 dst_sel:DWORD dst_unused:UNUSED_PAD src0_sel:DWORD src1_sel:WORD_1
	v_fma_f16 v97, v98, v108, v97
	v_pack_b32_f16 v125, v111, v97
	ds_read2_b32 v[97:98], v127 offset0:238 offset1:255
	s_waitcnt lgkmcnt(1)
	v_lshrrev_b32_e32 v108, 16, v104
	s_waitcnt vmcnt(20)
	v_mul_f16_sdwa v111, v108, v109 dst_sel:DWORD dst_unused:UNUSED_PAD src0_sel:DWORD src1_sel:WORD_1
	v_fma_f16 v111, v104, v109, -v111
	v_mul_f16_sdwa v104, v104, v109 dst_sel:DWORD dst_unused:UNUSED_PAD src0_sel:DWORD src1_sel:WORD_1
	v_fma_f16 v104, v108, v109, v104
	ds_read2_b32 v[108:109], v185 offset0:84 offset1:101
	v_pack_b32_f16 v104, v111, v104
	s_waitcnt lgkmcnt(1)
	v_lshrrev_b32_e32 v111, 16, v98
	s_waitcnt vmcnt(19)
	v_mul_f16_sdwa v113, v111, v110 dst_sel:DWORD dst_unused:UNUSED_PAD src0_sel:DWORD src1_sel:WORD_1
	v_fma_f16 v113, v98, v110, -v113
	v_mul_f16_sdwa v98, v98, v110 dst_sel:DWORD dst_unused:UNUSED_PAD src0_sel:DWORD src1_sel:WORD_1
	v_fma_f16 v98, v111, v110, v98
	global_load_dword v192, v106, s[0:1] offset:1156
	global_load_dword v193, v106, s[0:1] offset:1224
	;; [unrolled: 1-line block ×6, first 2 shown]
	ds_read2_b32 v[110:111], v185 offset0:152 offset1:169
	v_pack_b32_f16 v98, v113, v98
	s_waitcnt lgkmcnt(1)
	v_lshrrev_b32_e32 v113, 16, v108
	s_waitcnt vmcnt(24)
	v_mul_f16_sdwa v199, v113, v112 dst_sel:DWORD dst_unused:UNUSED_PAD src0_sel:DWORD src1_sel:WORD_1
	v_fma_f16 v199, v108, v112, -v199
	v_mul_f16_sdwa v108, v108, v112 dst_sel:DWORD dst_unused:UNUSED_PAD src0_sel:DWORD src1_sel:WORD_1
	v_fma_f16 v108, v113, v112, v108
	global_load_dword v200, v106, s[0:1] offset:2176
	global_load_dword v201, v106, s[0:1] offset:1836
	global_load_dword v202, v106, s[0:1] offset:1904
	global_load_dword v203, v106, s[0:1] offset:1972
	ds_read2_b32 v[112:113], v107 offset0:126 offset1:143
	v_pack_b32_f16 v108, v199, v108
	s_waitcnt lgkmcnt(1)
	v_lshrrev_b32_e32 v199, 16, v111
	s_waitcnt vmcnt(27)
	v_mul_f16_sdwa v204, v199, v114 dst_sel:DWORD dst_unused:UNUSED_PAD src0_sel:DWORD src1_sel:WORD_1
	v_fma_f16 v204, v111, v114, -v204
	v_mul_f16_sdwa v111, v111, v114 dst_sel:DWORD dst_unused:UNUSED_PAD src0_sel:DWORD src1_sel:WORD_1
	v_fma_f16 v111, v199, v114, v111
	v_pack_b32_f16 v199, v204, v111
	s_waitcnt lgkmcnt(0)
	v_lshrrev_b32_e32 v111, 16, v112
	s_waitcnt vmcnt(26)
	v_mul_f16_sdwa v114, v111, v115 dst_sel:DWORD dst_unused:UNUSED_PAD src0_sel:DWORD src1_sel:WORD_1
	v_fma_f16 v114, v112, v115, -v114
	v_mul_f16_sdwa v112, v112, v115 dst_sel:DWORD dst_unused:UNUSED_PAD src0_sel:DWORD src1_sel:WORD_1
	v_fma_f16 v111, v111, v115, v112
	v_lshrrev_b32_e32 v115, 16, v78
	v_pack_b32_f16 v114, v114, v111
	s_waitcnt vmcnt(25)
	v_mul_f16_sdwa v111, v115, v116 dst_sel:DWORD dst_unused:UNUSED_PAD src0_sel:DWORD src1_sel:WORD_1
	v_fma_f16 v204, v78, v116, -v111
	ds_read2_b32 v[111:112], v127 offset0:102 offset1:119
	v_mul_f16_sdwa v78, v78, v116 dst_sel:DWORD dst_unused:UNUSED_PAD src0_sel:DWORD src1_sel:WORD_1
	v_fma_f16 v78, v115, v116, v78
	v_pack_b32_f16 v78, v204, v78
	ds_write2_b32 v127, v77, v78 offset1:17
	s_waitcnt lgkmcnt(1)
	v_lshrrev_b32_e32 v77, 16, v111
	s_waitcnt vmcnt(24)
	v_mul_f16_sdwa v78, v77, v117 dst_sel:DWORD dst_unused:UNUSED_PAD src0_sel:DWORD src1_sel:WORD_1
	v_fma_f16 v78, v111, v117, -v78
	v_mul_f16_sdwa v111, v111, v117 dst_sel:DWORD dst_unused:UNUSED_PAD src0_sel:DWORD src1_sel:WORD_1
	v_fma_f16 v77, v77, v117, v111
	v_lshrrev_b32_e32 v111, 16, v105
	v_pack_b32_f16 v115, v78, v77
	s_waitcnt vmcnt(23)
	v_mul_f16_sdwa v77, v111, v118 dst_sel:DWORD dst_unused:UNUSED_PAD src0_sel:DWORD src1_sel:WORD_1
	v_fma_f16 v116, v105, v118, -v77
	ds_read2_b32 v[77:78], v185 offset0:16 offset1:33
	v_mul_f16_sdwa v105, v105, v118 dst_sel:DWORD dst_unused:UNUSED_PAD src0_sel:DWORD src1_sel:WORD_1
	v_fma_f16 v105, v111, v118, v105
	v_pack_b32_f16 v105, v116, v105
	ds_write2_b32 v127, v104, v105 offset0:170 offset1:187
	s_waitcnt lgkmcnt(1)
	v_lshrrev_b32_e32 v104, 16, v77
	v_lshrrev_b32_e32 v111, 16, v109
	s_waitcnt vmcnt(17)
	v_mul_f16_sdwa v105, v104, v124 dst_sel:DWORD dst_unused:UNUSED_PAD src0_sel:DWORD src1_sel:WORD_1
	v_fma_f16 v105, v77, v124, -v105
	v_mul_f16_sdwa v77, v77, v124 dst_sel:DWORD dst_unused:UNUSED_PAD src0_sel:DWORD src1_sel:WORD_1
	v_fma_f16 v77, v104, v124, v77
	s_waitcnt vmcnt(16)
	v_mul_f16_sdwa v104, v111, v126 dst_sel:DWORD dst_unused:UNUSED_PAD src0_sel:DWORD src1_sel:WORD_1
	v_pack_b32_f16 v77, v105, v77
	v_fma_f16 v116, v109, v126, -v104
	ds_read2_b32 v[104:105], v185 offset0:186 offset1:203
	v_mul_f16_sdwa v109, v109, v126 dst_sel:DWORD dst_unused:UNUSED_PAD src0_sel:DWORD src1_sel:WORD_1
	v_fma_f16 v109, v111, v126, v109
	v_pack_b32_f16 v109, v116, v109
	ds_write2_b32 v185, v108, v109 offset0:84 offset1:101
	s_waitcnt lgkmcnt(1)
	v_lshrrev_b32_e32 v108, 16, v104
	s_waitcnt vmcnt(11)
	v_mul_f16_sdwa v109, v108, v190 dst_sel:DWORD dst_unused:UNUSED_PAD src0_sel:DWORD src1_sel:WORD_1
	v_fma_f16 v109, v104, v190, -v109
	v_mul_f16_sdwa v104, v104, v190 dst_sel:DWORD dst_unused:UNUSED_PAD src0_sel:DWORD src1_sel:WORD_1
	v_lshrrev_b32_e32 v111, 16, v113
	v_fma_f16 v104, v108, v190, v104
	s_waitcnt vmcnt(10)
	v_mul_f16_sdwa v108, v111, v191 dst_sel:DWORD dst_unused:UNUSED_PAD src0_sel:DWORD src1_sel:WORD_1
	v_pack_b32_f16 v104, v109, v104
	v_fma_f16 v116, v113, v191, -v108
	ds_read2_b32 v[108:109], v127 offset0:34 offset1:51
	v_mul_f16_sdwa v113, v113, v191 dst_sel:DWORD dst_unused:UNUSED_PAD src0_sel:DWORD src1_sel:WORD_1
	v_fma_f16 v111, v111, v191, v113
	v_pack_b32_f16 v111, v116, v111
	ds_write2_b32 v107, v114, v111 offset0:126 offset1:143
	s_waitcnt lgkmcnt(1)
	v_lshrrev_b32_e32 v111, 16, v108
	v_mul_f16_sdwa v113, v111, v119 dst_sel:DWORD dst_unused:UNUSED_PAD src0_sel:DWORD src1_sel:WORD_1
	v_fma_f16 v113, v108, v119, -v113
	v_mul_f16_sdwa v108, v108, v119 dst_sel:DWORD dst_unused:UNUSED_PAD src0_sel:DWORD src1_sel:WORD_1
	v_fma_f16 v108, v111, v119, v108
	v_pack_b32_f16 v108, v113, v108
	v_lshrrev_b32_e32 v113, 16, v112
	v_mul_f16_sdwa v116, v112, v121 dst_sel:DWORD dst_unused:UNUSED_PAD src0_sel:DWORD src1_sel:WORD_1
	v_mul_f16_sdwa v111, v113, v121 dst_sel:DWORD dst_unused:UNUSED_PAD src0_sel:DWORD src1_sel:WORD_1
	v_fma_f16 v113, v113, v121, v116
	global_load_dword v116, v106, s[0:1] offset:2244
	v_fma_f16 v114, v112, v121, -v111
	ds_read2_b32 v[111:112], v127 offset0:204 offset1:221
	v_pack_b32_f16 v113, v114, v113
	ds_write2_b32 v127, v115, v113 offset0:102 offset1:119
	global_load_dword v106, v106, s[0:1] offset:2312
	v_lshrrev_b32_e32 v115, 16, v78
	s_waitcnt lgkmcnt(1)
	v_lshrrev_b32_e32 v113, 16, v111
	v_mul_f16_sdwa v114, v113, v166 dst_sel:DWORD dst_unused:UNUSED_PAD src0_sel:DWORD src1_sel:WORD_1
	v_fma_f16 v114, v111, v166, -v114
	v_mul_f16_sdwa v111, v111, v166 dst_sel:DWORD dst_unused:UNUSED_PAD src0_sel:DWORD src1_sel:WORD_1
	v_fma_f16 v111, v113, v166, v111
	s_waitcnt vmcnt(11)
	v_mul_f16_sdwa v113, v115, v192 dst_sel:DWORD dst_unused:UNUSED_PAD src0_sel:DWORD src1_sel:WORD_1
	v_pack_b32_f16 v111, v114, v111
	v_fma_f16 v117, v78, v192, -v113
	ds_read2_b32 v[113:114], v185 offset0:118 offset1:135
	v_mul_f16_sdwa v78, v78, v192 dst_sel:DWORD dst_unused:UNUSED_PAD src0_sel:DWORD src1_sel:WORD_1
	v_fma_f16 v78, v115, v192, v78
	v_pack_b32_f16 v78, v117, v78
	ds_write2_b32 v185, v77, v78 offset0:16 offset1:33
	s_waitcnt lgkmcnt(1)
	v_lshrrev_b32_e32 v77, 16, v113
	s_waitcnt vmcnt(9)
	v_mul_f16_sdwa v78, v77, v194 dst_sel:DWORD dst_unused:UNUSED_PAD src0_sel:DWORD src1_sel:WORD_1
	v_fma_f16 v78, v113, v194, -v78
	v_mul_f16_sdwa v113, v113, v194 dst_sel:DWORD dst_unused:UNUSED_PAD src0_sel:DWORD src1_sel:WORD_1
	v_fma_f16 v77, v77, v194, v113
	v_lshrrev_b32_e32 v115, 16, v105
	v_pack_b32_f16 v113, v78, v77
	s_waitcnt vmcnt(4)
	v_mul_f16_sdwa v77, v115, v201 dst_sel:DWORD dst_unused:UNUSED_PAD src0_sel:DWORD src1_sel:WORD_1
	v_fma_f16 v117, v105, v201, -v77
	ds_read2_b32 v[77:78], v186 offset0:32 offset1:49
	v_mul_f16_sdwa v105, v105, v201 dst_sel:DWORD dst_unused:UNUSED_PAD src0_sel:DWORD src1_sel:WORD_1
	v_fma_f16 v105, v115, v201, v105
	v_pack_b32_f16 v105, v117, v105
	ds_write2_b32 v185, v104, v105 offset0:186 offset1:203
	s_waitcnt lgkmcnt(1)
	v_lshrrev_b32_e32 v104, 16, v77
	v_mul_f16_sdwa v105, v104, v200 dst_sel:DWORD dst_unused:UNUSED_PAD src0_sel:DWORD src1_sel:WORD_1
	v_fma_f16 v105, v77, v200, -v105
	v_mul_f16_sdwa v77, v77, v200 dst_sel:DWORD dst_unused:UNUSED_PAD src0_sel:DWORD src1_sel:WORD_1
	v_lshrrev_b32_e32 v115, 16, v109
	v_fma_f16 v77, v104, v200, v77
	v_mul_f16_sdwa v104, v115, v120 dst_sel:DWORD dst_unused:UNUSED_PAD src0_sel:DWORD src1_sel:WORD_1
	v_pack_b32_f16 v77, v105, v77
	v_fma_f16 v117, v109, v120, -v104
	ds_read2_b32 v[104:105], v127 offset0:136 offset1:153
	v_mul_f16_sdwa v109, v109, v120 dst_sel:DWORD dst_unused:UNUSED_PAD src0_sel:DWORD src1_sel:WORD_1
	v_fma_f16 v109, v115, v120, v109
	v_pack_b32_f16 v109, v117, v109
	ds_write2_b32 v127, v108, v109 offset0:34 offset1:51
	s_waitcnt lgkmcnt(1)
	v_lshrrev_b32_e32 v108, 16, v104
	v_mul_f16_sdwa v109, v108, v122 dst_sel:DWORD dst_unused:UNUSED_PAD src0_sel:DWORD src1_sel:WORD_1
	v_fma_f16 v109, v104, v122, -v109
	v_mul_f16_sdwa v104, v104, v122 dst_sel:DWORD dst_unused:UNUSED_PAD src0_sel:DWORD src1_sel:WORD_1
	v_lshrrev_b32_e32 v115, 16, v112
	v_fma_f16 v104, v108, v122, v104
	v_mul_f16_sdwa v108, v115, v187 dst_sel:DWORD dst_unused:UNUSED_PAD src0_sel:DWORD src1_sel:WORD_1
	v_pack_b32_f16 v104, v109, v104
	;; [unrolled: 15-line block ×3, first 2 shown]
	v_fma_f16 v117, v114, v195, -v111
	ds_read2_b32 v[111:112], v185 offset0:220 offset1:237
	v_mul_f16_sdwa v114, v114, v195 dst_sel:DWORD dst_unused:UNUSED_PAD src0_sel:DWORD src1_sel:WORD_1
	v_fma_f16 v114, v115, v195, v114
	v_pack_b32_f16 v114, v117, v114
	ds_write2_b32 v185, v113, v114 offset0:118 offset1:135
	s_waitcnt lgkmcnt(1)
	v_lshrrev_b32_e32 v113, 16, v111
	s_waitcnt vmcnt(3)
	v_mul_f16_sdwa v114, v113, v202 dst_sel:DWORD dst_unused:UNUSED_PAD src0_sel:DWORD src1_sel:WORD_1
	v_fma_f16 v114, v111, v202, -v114
	v_mul_f16_sdwa v111, v111, v202 dst_sel:DWORD dst_unused:UNUSED_PAD src0_sel:DWORD src1_sel:WORD_1
	v_fma_f16 v111, v113, v202, v111
	v_lshrrev_b32_e32 v113, 16, v78
	v_pack_b32_f16 v111, v114, v111
	s_waitcnt vmcnt(1)
	v_mul_f16_sdwa v114, v113, v116 dst_sel:DWORD dst_unused:UNUSED_PAD src0_sel:DWORD src1_sel:WORD_1
	v_fma_f16 v114, v78, v116, -v114
	v_mul_f16_sdwa v78, v78, v116 dst_sel:DWORD dst_unused:UNUSED_PAD src0_sel:DWORD src1_sel:WORD_1
	v_fma_f16 v78, v113, v116, v78
	v_pack_b32_f16 v78, v114, v78
	ds_write2_b32 v186, v77, v78 offset0:32 offset1:49
	v_lshrrev_b32_e32 v77, 16, v96
	v_mul_f16_sdwa v78, v77, v123 dst_sel:DWORD dst_unused:UNUSED_PAD src0_sel:DWORD src1_sel:WORD_1
	v_fma_f16 v78, v96, v123, -v78
	v_mul_f16_sdwa v96, v96, v123 dst_sel:DWORD dst_unused:UNUSED_PAD src0_sel:DWORD src1_sel:WORD_1
	v_fma_f16 v77, v77, v123, v96
	v_pack_b32_f16 v77, v78, v77
	ds_write2_b32 v127, v77, v125 offset0:68 offset1:85
	v_lshrrev_b32_e32 v77, 16, v105
	v_mul_f16_sdwa v78, v77, v189 dst_sel:DWORD dst_unused:UNUSED_PAD src0_sel:DWORD src1_sel:WORD_1
	v_mul_f16_sdwa v96, v105, v189 dst_sel:DWORD dst_unused:UNUSED_PAD src0_sel:DWORD src1_sel:WORD_1
	v_fma_f16 v78, v105, v189, -v78
	v_fma_f16 v77, v77, v189, v96
	v_pack_b32_f16 v77, v78, v77
	ds_write2_b32 v127, v104, v77 offset0:136 offset1:153
	v_lshrrev_b32_e32 v77, 16, v97
	v_mul_f16_sdwa v78, v77, v188 dst_sel:DWORD dst_unused:UNUSED_PAD src0_sel:DWORD src1_sel:WORD_1
	v_mul_f16_sdwa v96, v97, v188 dst_sel:DWORD dst_unused:UNUSED_PAD src0_sel:DWORD src1_sel:WORD_1
	v_fma_f16 v78, v97, v188, -v78
	;; [unrolled: 7-line block ×4, first 2 shown]
	v_fma_f16 v77, v77, v196, v96
	v_pack_b32_f16 v77, v78, v77
	ds_read_b32 v96, v127 offset:2312
	ds_write2_b32 v185, v77, v199 offset0:152 offset1:169
	v_lshrrev_b32_e32 v77, 16, v112
	v_mul_f16_sdwa v78, v77, v203 dst_sel:DWORD dst_unused:UNUSED_PAD src0_sel:DWORD src1_sel:WORD_1
	v_mul_f16_sdwa v97, v112, v203 dst_sel:DWORD dst_unused:UNUSED_PAD src0_sel:DWORD src1_sel:WORD_1
	v_fma_f16 v78, v112, v203, -v78
	v_fma_f16 v77, v77, v203, v97
	v_pack_b32_f16 v77, v78, v77
	ds_write2_b32 v185, v111, v77 offset0:220 offset1:237
	s_waitcnt lgkmcnt(2)
	v_lshrrev_b32_e32 v77, 16, v96
	s_waitcnt vmcnt(0)
	v_mul_f16_sdwa v78, v77, v106 dst_sel:DWORD dst_unused:UNUSED_PAD src0_sel:DWORD src1_sel:WORD_1
	v_fma_f16 v78, v96, v106, -v78
	v_mul_f16_sdwa v96, v96, v106 dst_sel:DWORD dst_unused:UNUSED_PAD src0_sel:DWORD src1_sel:WORD_1
	v_fma_f16 v77, v77, v106, v96
	v_pack_b32_f16 v77, v78, v77
	ds_write_b32 v127, v77 offset:2312
	s_waitcnt lgkmcnt(0)
	; wave barrier
	s_waitcnt lgkmcnt(0)
	ds_read2_b32 v[77:78], v127 offset0:102 offset1:119
	ds_read2_b32 v[96:97], v127 offset0:170 offset1:187
	;; [unrolled: 1-line block ×6, first 2 shown]
	ds_read2_b32 v[112:113], v127 offset1:17
	s_movk_i32 s1, 0x2b26
	s_waitcnt lgkmcnt(3)
	v_pk_add_f16 v98, v77, v107
	s_waitcnt lgkmcnt(2)
	v_pk_add_f16 v114, v97, v108
	;; [unrolled: 2-line block ×3, first 2 shown]
	v_pk_add_f16 v116, v114, v98
	v_pk_add_f16 v116, v115, v116
	v_pk_add_f16 v77, v77, v107 neg_lo:[0,1] neg_hi:[0,1]
	v_pk_add_f16 v97, v97, v108 neg_lo:[0,1] neg_hi:[0,1]
	s_waitcnt lgkmcnt(0)
	v_pk_add_f16 v119, v113, v116
	v_pk_add_f16 v104, v111, v104 neg_lo:[0,1] neg_hi:[0,1]
	v_pk_add_f16 v107, v114, v98 neg_lo:[0,1] neg_hi:[0,1]
	;; [unrolled: 1-line block ×4, first 2 shown]
	v_pk_add_f16 v108, v104, v97
	v_pk_add_f16 v111, v77, v104 neg_lo:[0,1] neg_hi:[0,1]
	v_pk_mul_f16 v98, v98, s7 op_sel_hi:[1,0]
	v_pk_mul_f16 v107, v107, s12 op_sel_hi:[1,0]
	;; [unrolled: 1-line block ×3, first 2 shown]
	v_pk_add_f16 v114, v115, v114 neg_lo:[0,1] neg_hi:[0,1]
	v_pk_add_f16 v97, v104, v97 neg_lo:[0,1] neg_hi:[0,1]
	v_pk_add_f16 v77, v108, v77
	v_pk_mul_f16 v108, v111, s6 op_sel_hi:[1,0]
	v_pk_fma_f16 v116, v116, s14, v119 op_sel_hi:[1,0,1] neg_lo:[1,0,0] neg_hi:[1,0,0]
	v_pk_add_f16 v117, v98, v107 op_sel:[1,1] op_sel_hi:[0,0] neg_lo:[1,1] neg_hi:[1,1]
	s_mov_b32 s0, 0xb70e
	v_pk_fma_f16 v104, v114, s1, v107 op_sel_hi:[1,0,1] neg_lo:[1,0,0] neg_hi:[1,0,0]
	v_pk_fma_f16 v107, v97, s3, v113 op_sel_hi:[1,0,1] neg_lo:[1,0,0] neg_hi:[1,0,0]
	;; [unrolled: 1-line block ×3, first 2 shown]
	v_pk_add_f16 v104, v104, v116
	v_pk_fma_f16 v107, v77, s0, v107 op_sel_hi:[1,0,1]
	v_pk_fma_f16 v98, v114, s1, v98 op_sel_hi:[1,0,1]
	;; [unrolled: 1-line block ×4, first 2 shown]
	v_pk_add_f16 v113, v104, v107 op_sel:[0,1] op_sel_hi:[1,0] neg_lo:[0,1] neg_hi:[0,1]
	v_pk_add_f16 v104, v104, v107 op_sel:[0,1] op_sel_hi:[1,0]
	v_pk_add_f16 v98, v98, v116
	v_pk_fma_f16 v77, v77, s0, v97 op_sel_hi:[1,0,1]
	v_bfi_b32 v121, s2, v113, v104
	v_bfi_b32 v122, s2, v104, v113
	v_pk_add_f16 v123, v98, v77 op_sel:[0,1] op_sel_hi:[1,0]
	v_pk_add_f16 v124, v98, v77 op_sel:[0,1] op_sel_hi:[1,0] neg_lo:[0,1] neg_hi:[0,1]
	ds_read2_b32 v[97:98], v186 offset0:32 offset1:49
	ds_read2_b32 v[107:108], v127 offset0:204 offset1:221
	;; [unrolled: 1-line block ×3, first 2 shown]
	v_pk_add_f16 v117, v117, v116 op_sel:[0,1] op_sel_hi:[1,0]
	ds_read2_b32 v[115:116], v127 offset0:34 offset1:51
	v_pk_add_f16 v118, v117, v111
	v_pk_add_f16 v111, v117, v111 neg_lo:[0,1] neg_hi:[0,1]
	s_waitcnt lgkmcnt(3)
	v_pk_add_f16 v77, v78, v97
	s_waitcnt lgkmcnt(2)
	v_pk_add_f16 v104, v107, v109
	v_alignbit_b32 v120, v111, v118, 16
	v_alignbit_b32 v111, v118, v111, 16
	s_waitcnt lgkmcnt(1)
	v_pk_add_f16 v117, v105, v113
	v_pk_add_f16 v118, v104, v77
	v_pk_add_f16 v78, v78, v97 neg_lo:[0,1] neg_hi:[0,1]
	v_pk_add_f16 v97, v107, v109 neg_lo:[0,1] neg_hi:[0,1]
	v_pk_add_f16 v118, v117, v118
	v_pk_add_f16 v105, v113, v105 neg_lo:[0,1] neg_hi:[0,1]
	v_pk_add_f16 v107, v104, v77 neg_lo:[0,1] neg_hi:[0,1]
	;; [unrolled: 1-line block ×4, first 2 shown]
	s_waitcnt lgkmcnt(0)
	v_pk_add_f16 v115, v115, v118
	v_pk_add_f16 v109, v105, v97
	v_pk_mul_f16 v77, v77, s7 op_sel_hi:[1,0]
	v_pk_mul_f16 v107, v107, s12 op_sel_hi:[1,0]
	;; [unrolled: 1-line block ×3, first 2 shown]
	v_pk_add_f16 v104, v117, v104 neg_lo:[0,1] neg_hi:[0,1]
	v_pk_add_f16 v97, v105, v97 neg_lo:[0,1] neg_hi:[0,1]
	;; [unrolled: 1-line block ×3, first 2 shown]
	v_pk_add_f16 v78, v109, v78
	v_pk_fma_f16 v118, v118, s14, v115 op_sel_hi:[1,0,1] neg_lo:[1,0,0] neg_hi:[1,0,0]
	v_pk_add_f16 v166, v77, v107 op_sel:[1,1] op_sel_hi:[0,0] neg_lo:[1,1] neg_hi:[1,1]
	v_pk_fma_f16 v105, v104, s1, v107 op_sel_hi:[1,0,1] neg_lo:[1,0,0] neg_hi:[1,0,0]
	v_pk_fma_f16 v107, v97, s3, v126 op_sel_hi:[1,0,1] neg_lo:[1,0,0] neg_hi:[1,0,0]
	v_pk_mul_f16 v109, v113, s6 op_sel_hi:[1,0]
	v_pk_add_f16 v105, v105, v118
	v_pk_fma_f16 v107, v78, s0, v107 op_sel_hi:[1,0,1]
	v_pk_fma_f16 v113, v113, s6, v126 op_sel_hi:[1,0,1] neg_lo:[1,0,1] neg_hi:[1,0,1]
	v_pk_add_f16 v117, v105, v107 op_sel:[0,1] op_sel_hi:[1,0] neg_lo:[0,1] neg_hi:[0,1]
	v_pk_add_f16 v105, v105, v107 op_sel:[0,1] op_sel_hi:[1,0]
	v_pk_fma_f16 v77, v104, s1, v77 op_sel_hi:[1,0,1]
	v_pk_fma_f16 v97, v97, s3, v109 op_sel_hi:[1,0,1]
	v_pk_add_f16 v166, v166, v118 op_sel:[0,1] op_sel_hi:[1,0]
	v_pk_fma_f16 v113, v78, s0, v113 op_sel_hi:[1,0,1]
	v_bfi_b32 v126, s2, v117, v105
	v_bfi_b32 v188, s2, v105, v117
	v_pk_add_f16 v107, v77, v118
	v_pk_fma_f16 v97, v78, s0, v97 op_sel_hi:[1,0,1]
	ds_read2_b32 v[77:78], v127 offset0:136 offset1:153
	ds_read2_b32 v[104:105], v185 offset0:220 offset1:237
	;; [unrolled: 1-line block ×3, first 2 shown]
	v_pk_add_f16 v187, v166, v113
	v_pk_add_f16 v113, v166, v113 neg_lo:[0,1] neg_hi:[0,1]
	v_pk_add_f16 v109, v107, v97 op_sel:[0,1] op_sel_hi:[1,0]
	v_pk_add_f16 v189, v107, v97 op_sel:[0,1] op_sel_hi:[1,0] neg_lo:[0,1] neg_hi:[0,1]
	s_waitcnt lgkmcnt(2)
	v_pk_add_f16 v97, v77, v98
	s_waitcnt lgkmcnt(1)
	v_pk_add_f16 v107, v108, v104
	v_alignbit_b32 v166, v113, v187, 16
	v_alignbit_b32 v187, v187, v113, 16
	s_waitcnt lgkmcnt(0)
	v_pk_add_f16 v113, v117, v114
	v_pk_add_f16 v191, v107, v97
	v_pk_add_f16 v77, v77, v98 neg_lo:[0,1] neg_hi:[0,1]
	v_pk_add_f16 v98, v108, v104 neg_lo:[0,1] neg_hi:[0,1]
	v_pk_add_f16 v191, v113, v191
	v_pk_add_f16 v104, v114, v117 neg_lo:[0,1] neg_hi:[0,1]
	v_pk_add_f16 v108, v107, v97 neg_lo:[0,1] neg_hi:[0,1]
	;; [unrolled: 1-line block ×4, first 2 shown]
	v_pk_add_f16 v116, v116, v191
	v_pk_add_f16 v114, v104, v98
	v_pk_add_f16 v117, v77, v104 neg_lo:[0,1] neg_hi:[0,1]
	v_pk_mul_f16 v97, v97, s7 op_sel_hi:[1,0]
	v_pk_mul_f16 v108, v108, s12 op_sel_hi:[1,0]
	;; [unrolled: 1-line block ×3, first 2 shown]
	v_pk_add_f16 v107, v113, v107 neg_lo:[0,1] neg_hi:[0,1]
	v_pk_add_f16 v98, v104, v98 neg_lo:[0,1] neg_hi:[0,1]
	v_pk_add_f16 v77, v114, v77
	v_pk_mul_f16 v114, v117, s6 op_sel_hi:[1,0]
	v_pk_fma_f16 v191, v191, s14, v116 op_sel_hi:[1,0,1] neg_lo:[1,0,0] neg_hi:[1,0,0]
	v_pk_add_f16 v193, v97, v108 op_sel:[1,1] op_sel_hi:[0,0] neg_lo:[1,1] neg_hi:[1,1]
	v_pk_fma_f16 v117, v117, s6, v192 op_sel_hi:[1,0,1] neg_lo:[1,0,1] neg_hi:[1,0,1]
	v_pk_fma_f16 v104, v107, s1, v108 op_sel_hi:[1,0,1] neg_lo:[1,0,0] neg_hi:[1,0,0]
	;; [unrolled: 1-line block ×3, first 2 shown]
	v_pk_add_f16 v193, v193, v191 op_sel:[0,1] op_sel_hi:[1,0]
	v_pk_fma_f16 v117, v77, s0, v117 op_sel_hi:[1,0,1]
	v_pk_add_f16 v104, v104, v191
	v_pk_fma_f16 v108, v77, s0, v108 op_sel_hi:[1,0,1]
	v_pk_fma_f16 v97, v107, s1, v97 op_sel_hi:[1,0,1]
	;; [unrolled: 1-line block ×3, first 2 shown]
	v_pk_add_f16 v194, v193, v117
	v_pk_add_f16 v117, v193, v117 neg_lo:[0,1] neg_hi:[0,1]
	v_pk_add_f16 v113, v104, v108 op_sel:[0,1] op_sel_hi:[1,0] neg_lo:[0,1] neg_hi:[0,1]
	v_pk_add_f16 v104, v104, v108 op_sel:[0,1] op_sel_hi:[1,0]
	v_pk_add_f16 v97, v97, v191
	v_pk_fma_f16 v77, v77, s0, v98 op_sel_hi:[1,0,1]
	v_alignbit_b32 v193, v117, v194, 16
	v_bfi_b32 v192, s2, v113, v104
	v_bfi_b32 v104, s2, v104, v113
	v_alignbit_b32 v117, v194, v117, 16
	v_pk_add_f16 v191, v97, v77 op_sel:[0,1] op_sel_hi:[1,0]
	v_pk_add_f16 v77, v97, v77 op_sel:[0,1] op_sel_hi:[1,0] neg_lo:[0,1] neg_hi:[0,1]
	ds_read_b32 v194, v127 offset:2312
	ds_read2_b32 v[97:98], v127 offset0:238 offset1:255
	ds_read2_b32 v[107:108], v185 offset0:152 offset1:169
	;; [unrolled: 1-line block ×3, first 2 shown]
	s_waitcnt lgkmcnt(0)
	; wave barrier
	s_waitcnt lgkmcnt(0)
	v_pk_add_f16 v203, v98, v110
	v_pk_add_f16 v202, v96, v108
	;; [unrolled: 1-line block ×4, first 2 shown]
	v_pk_add_f16 v106, v114, v106 neg_lo:[0,1] neg_hi:[0,1]
	v_pk_add_f16 v96, v96, v108 neg_lo:[0,1] neg_hi:[0,1]
	v_pk_add_f16 v204, v203, v204
	v_pk_add_f16 v98, v110, v98 neg_lo:[0,1] neg_hi:[0,1]
	v_pk_add_f16 v108, v202, v201 neg_lo:[0,1] neg_hi:[0,1]
	;; [unrolled: 1-line block ×4, first 2 shown]
	v_pk_add_f16 v112, v112, v204
	v_pk_add_f16 v114, v98, v96
	v_pk_add_f16 v201, v106, v98 neg_lo:[0,1] neg_hi:[0,1]
	v_pk_mul_f16 v110, v110, s7 op_sel_hi:[1,0]
	v_pk_mul_f16 v108, v108, s12 op_sel_hi:[1,0]
	;; [unrolled: 1-line block ×3, first 2 shown]
	v_pk_add_f16 v202, v203, v202 neg_lo:[0,1] neg_hi:[0,1]
	v_pk_add_f16 v96, v98, v96 neg_lo:[0,1] neg_hi:[0,1]
	v_pk_add_f16 v106, v114, v106
	v_pk_mul_f16 v114, v201, s6 op_sel_hi:[1,0]
	v_pk_fma_f16 v204, v204, s14, v112 op_sel_hi:[1,0,1] neg_lo:[1,0,0] neg_hi:[1,0,0]
	v_pk_add_f16 v206, v110, v108 op_sel:[1,1] op_sel_hi:[0,0] neg_lo:[1,1] neg_hi:[1,1]
	v_pk_fma_f16 v201, v201, s6, v205 op_sel_hi:[1,0,1] neg_lo:[1,0,1] neg_hi:[1,0,1]
	v_pk_fma_f16 v98, v202, s1, v108 op_sel_hi:[1,0,1] neg_lo:[1,0,0] neg_hi:[1,0,0]
	;; [unrolled: 1-line block ×3, first 2 shown]
	v_pk_add_f16 v206, v206, v204 op_sel:[0,1] op_sel_hi:[1,0]
	v_pk_fma_f16 v201, v106, s0, v201 op_sel_hi:[1,0,1]
	v_pk_add_f16 v98, v98, v204
	v_pk_fma_f16 v108, v106, s0, v108 op_sel_hi:[1,0,1]
	v_pk_add_f16 v207, v206, v201
	v_pk_add_f16 v201, v206, v201 neg_lo:[0,1] neg_hi:[0,1]
	v_pk_add_f16 v203, v98, v108 op_sel:[0,1] op_sel_hi:[1,0] neg_lo:[0,1] neg_hi:[0,1]
	v_pk_add_f16 v98, v98, v108 op_sel:[0,1] op_sel_hi:[1,0]
	v_alignbit_b32 v206, v201, v207, 16
	v_bfi_b32 v108, s2, v203, v98
	ds_write2_b32 v99, v206, v108 offset0:2 offset1:3
	v_bfi_b32 v98, s2, v98, v203
	v_alignbit_b32 v108, v207, v201, 16
	ds_write2_b32 v99, v98, v108 offset0:4 offset1:5
	v_pk_fma_f16 v98, v202, s1, v110 op_sel_hi:[1,0,1]
	v_pk_fma_f16 v96, v96, s3, v114 op_sel_hi:[1,0,1]
	v_pk_add_f16 v98, v98, v204
	v_pk_fma_f16 v96, v106, s0, v96 op_sel_hi:[1,0,1]
	v_pk_add_f16 v106, v98, v96 op_sel:[0,1] op_sel_hi:[1,0]
	v_pk_add_f16 v96, v98, v96 op_sel:[0,1] op_sel_hi:[1,0] neg_lo:[0,1] neg_hi:[0,1]
	v_bfi_b32 v98, s2, v96, v106
	v_bfi_b32 v96, s2, v106, v96
	ds_write2_b32 v99, v112, v96 offset1:1
	ds_write_b32 v99, v98 offset:24
	ds_write2_b32 v100, v120, v121 offset0:2 offset1:3
	ds_write2_b32 v100, v122, v111 offset0:4 offset1:5
	v_bfi_b32 v96, s2, v123, v124
	v_bfi_b32 v125, s2, v124, v123
	;; [unrolled: 1-line block ×3, first 2 shown]
	v_pk_add_f16 v196, v78, v194
	v_pk_add_f16 v197, v97, v105
	ds_write2_b32 v100, v119, v96 offset1:1
	ds_write_b32 v100, v125 offset:24
	ds_write2_b32 v102, v166, v126 offset0:2 offset1:3
	ds_write2_b32 v102, v188, v187 offset0:4 offset1:5
	v_bfi_b32 v96, s2, v109, v189
	v_bfi_b32 v77, s2, v191, v77
	;; [unrolled: 1-line block ×3, first 2 shown]
	v_pk_add_f16 v199, v118, v107
	v_pk_add_f16 v200, v197, v196
	ds_write2_b32 v102, v115, v96 offset1:1
	ds_write_b32 v102, v190 offset:24
	ds_write2_b32 v103, v193, v192 offset0:2 offset1:3
	ds_write2_b32 v103, v104, v117 offset0:4 offset1:5
	ds_write2_b32 v103, v116, v77 offset1:1
	ds_write_b32 v103, v195 offset:24
	v_pk_add_f16 v77, v78, v194 neg_lo:[0,1] neg_hi:[0,1]
	v_pk_add_f16 v78, v97, v105 neg_lo:[0,1] neg_hi:[0,1]
	v_pk_add_f16 v200, v199, v200
	v_pk_add_f16 v96, v107, v118 neg_lo:[0,1] neg_hi:[0,1]
	v_pk_add_f16 v97, v197, v196 neg_lo:[0,1] neg_hi:[0,1]
	;; [unrolled: 1-line block ×4, first 2 shown]
	v_pk_add_f16 v113, v113, v200
	v_pk_add_f16 v99, v96, v78
	v_pk_add_f16 v100, v77, v96 neg_lo:[0,1] neg_hi:[0,1]
	v_pk_mul_f16 v98, v98, s7 op_sel_hi:[1,0]
	v_pk_mul_f16 v97, v97, s12 op_sel_hi:[1,0]
	;; [unrolled: 1-line block ×3, first 2 shown]
	v_pk_add_f16 v106, v199, v197 neg_lo:[0,1] neg_hi:[0,1]
	v_pk_add_f16 v78, v96, v78 neg_lo:[0,1] neg_hi:[0,1]
	v_pk_add_f16 v77, v99, v77
	v_pk_mul_f16 v99, v100, s6 op_sel_hi:[1,0]
	v_pk_fma_f16 v103, v200, s14, v113 op_sel_hi:[1,0,1] neg_lo:[1,0,0] neg_hi:[1,0,0]
	v_pk_add_f16 v104, v98, v97 op_sel:[1,1] op_sel_hi:[0,0] neg_lo:[1,1] neg_hi:[1,1]
	v_pk_fma_f16 v100, v100, s6, v102 op_sel_hi:[1,0,1] neg_lo:[1,0,1] neg_hi:[1,0,1]
	v_pk_fma_f16 v96, v106, s1, v97 op_sel_hi:[1,0,1] neg_lo:[1,0,0] neg_hi:[1,0,0]
	;; [unrolled: 1-line block ×3, first 2 shown]
	v_pk_add_f16 v104, v104, v103 op_sel:[0,1] op_sel_hi:[1,0]
	v_pk_fma_f16 v100, v77, s0, v100 op_sel_hi:[1,0,1]
	v_pk_add_f16 v96, v96, v103
	v_pk_fma_f16 v97, v77, s0, v97 op_sel_hi:[1,0,1]
	v_pk_add_f16 v105, v104, v100
	v_pk_add_f16 v100, v104, v100 neg_lo:[0,1] neg_hi:[0,1]
	v_pk_add_f16 v102, v96, v97 op_sel:[0,1] op_sel_hi:[1,0] neg_lo:[0,1] neg_hi:[0,1]
	v_pk_add_f16 v96, v96, v97 op_sel:[0,1] op_sel_hi:[1,0]
	v_alignbit_b32 v104, v100, v105, 16
	v_bfi_b32 v97, s2, v102, v96
	ds_write2_b32 v101, v104, v97 offset0:2 offset1:3
	v_bfi_b32 v96, s2, v96, v102
	v_alignbit_b32 v97, v105, v100, 16
	ds_write2_b32 v101, v96, v97 offset0:4 offset1:5
	v_pk_fma_f16 v96, v106, s1, v98 op_sel_hi:[1,0,1]
	v_pk_fma_f16 v78, v78, s3, v99 op_sel_hi:[1,0,1]
	v_pk_add_f16 v96, v96, v103
	v_pk_fma_f16 v77, v77, s0, v78 op_sel_hi:[1,0,1]
	v_pk_add_f16 v166, v96, v77 op_sel:[0,1] op_sel_hi:[1,0]
	v_pk_add_f16 v190, v96, v77 op_sel:[0,1] op_sel_hi:[1,0] neg_lo:[0,1] neg_hi:[0,1]
	v_bfi_b32 v77, s2, v190, v166
	v_bfi_b32 v78, s2, v166, v190
	ds_write2_b32 v101, v113, v78 offset1:1
	ds_write_b32 v101, v77 offset:24
	s_waitcnt lgkmcnt(0)
	; wave barrier
	s_waitcnt lgkmcnt(0)
	ds_read2_b32 v[77:78], v127 offset1:17
	ds_read2_b32 v[125:126], v127 offset0:35 offset1:52
	ds_read2_b32 v[123:124], v127 offset0:70 offset1:87
	;; [unrolled: 1-line block ×16, first 2 shown]
	v_lshrrev_b32_e32 v191, 16, v166
	s_and_saveexec_b64 s[0:1], vcc
	s_cbranch_execz .LBB0_7
; %bb.6:
	v_add_u32_e32 v81, 0x400, v239
	ds_read_b32 v190, v127 offset:136
	ds_read2_b32 v[79:80], v239 offset0:69 offset1:104
	ds_read2_b32 v[83:84], v239 offset0:139 offset1:174
	;; [unrolled: 1-line block ×5, first 2 shown]
	v_add_u32_e32 v81, 0x600, v239
	ds_read2_b32 v[85:86], v81 offset0:105 offset1:140
	v_add_u32_e32 v81, 0x800, v239
	ds_read2_b32 v[87:88], v239 offset0:209 offset1:244
	ds_read2_b32 v[81:82], v81 offset0:47 offset1:82
	s_waitcnt lgkmcnt(8)
	v_lshrrev_b32_e32 v191, 16, v190
	s_waitcnt lgkmcnt(7)
	v_lshrrev_b32_e32 v244, 16, v79
	v_lshrrev_b32_e32 v167, 16, v80
	s_waitcnt lgkmcnt(6)
	v_lshrrev_b32_e32 v171, 16, v83
	;; [unrolled: 3-line block ×3, first 2 shown]
	v_lshrrev_b32_e32 v176, 16, v88
	v_lshrrev_b32_e32 v179, 16, v91
	;; [unrolled: 1-line block ×9, first 2 shown]
	s_waitcnt lgkmcnt(0)
	v_lshrrev_b32_e32 v170, 16, v81
	v_lshrrev_b32_e32 v169, 16, v82
.LBB0_7:
	s_or_b64 exec, exec, s[0:1]
	s_waitcnt lgkmcnt(14)
	v_lshrrev_b32_e32 v166, 16, v125
	v_mul_f16_sdwa v224, v16, v166 dst_sel:DWORD dst_unused:UNUSED_PAD src0_sel:WORD_1 src1_sel:DWORD
	v_lshrrev_b32_e32 v192, 16, v123
	v_fma_f16 v224, v16, v125, v224
	v_mul_f16_sdwa v125, v16, v125 dst_sel:DWORD dst_unused:UNUSED_PAD src0_sel:WORD_1 src1_sel:DWORD
	v_fma_f16 v166, v16, v166, -v125
	v_mul_f16_sdwa v16, v17, v192 dst_sel:DWORD dst_unused:UNUSED_PAD src0_sel:WORD_1 src1_sel:DWORD
	s_waitcnt lgkmcnt(13)
	v_lshrrev_b32_e32 v193, 16, v121
	v_fma_f16 v225, v17, v123, v16
	v_mul_f16_sdwa v16, v17, v123 dst_sel:DWORD dst_unused:UNUSED_PAD src0_sel:WORD_1 src1_sel:DWORD
	v_fma_f16 v226, v17, v192, -v16
	v_mul_f16_sdwa v16, v18, v193 dst_sel:DWORD dst_unused:UNUSED_PAD src0_sel:WORD_1 src1_sel:DWORD
	s_waitcnt lgkmcnt(12)
	;; [unrolled: 6-line block ×14, first 2 shown]
	v_lshrrev_b32_e32 v207, 16, v95
	v_fma_f16 v203, v30, v97, v16
	v_mul_f16_sdwa v16, v30, v97 dst_sel:DWORD dst_unused:UNUSED_PAD src0_sel:WORD_1 src1_sel:DWORD
	v_fma_f16 v204, v30, v206, -v16
	v_mul_f16_sdwa v16, v31, v207 dst_sel:DWORD dst_unused:UNUSED_PAD src0_sel:WORD_1 src1_sel:DWORD
	v_lshrrev_b32_e32 v208, 16, v126
	v_fma_f16 v205, v31, v95, v16
	v_mul_f16_sdwa v16, v31, v95 dst_sel:DWORD dst_unused:UNUSED_PAD src0_sel:WORD_1 src1_sel:DWORD
	v_fma_f16 v206, v31, v207, -v16
	v_mul_f16_sdwa v16, v32, v208 dst_sel:DWORD dst_unused:UNUSED_PAD src0_sel:WORD_1 src1_sel:DWORD
	;; [unrolled: 5-line block ×17, first 2 shown]
	v_fma_f16 v108, v47, v96, v16
	v_mul_f16_sdwa v16, v47, v96 dst_sel:DWORD dst_unused:UNUSED_PAD src0_sel:WORD_1 src1_sel:DWORD
	v_fma_f16 v109, v47, v223, -v16
	v_add_f16_e32 v16, v77, v224
	v_add_f16_sdwa v17, v77, v166 dst_sel:DWORD dst_unused:UNUSED_PAD src0_sel:WORD_1 src1_sel:DWORD
	v_add_f16_e32 v16, v16, v225
	v_add_f16_e32 v17, v17, v226
	;; [unrolled: 1-line block ×28, first 2 shown]
	v_sub_f16_e32 v45, v166, v206
	v_add_f16_e32 v17, v17, v204
	v_add_f16_e32 v16, v16, v205
	;; [unrolled: 1-line block ×3, first 2 shown]
	v_sub_f16_e32 v44, v224, v205
	s_mov_b32 s6, 0xb5c8
	v_mul_f16_e32 v46, 0xb5c8, v45
	s_movk_i32 s2, 0x3b76
	v_mul_f16_e32 v96, 0x3b76, v43
	s_movk_i32 s15, 0x35c8
	s_mov_b32 s12, 0xb964
	v_mul_f16_e32 v100, 0xb964, v45
	s_movk_i32 s3, 0x39e9
	v_mul_f16_e32 v104, 0x39e9, v43
	s_movk_i32 s25, 0x3964
	;; [unrolled: 5-line block ×4, first 2 shown]
	s_mov_b32 s19, 0xbbb2
	v_mul_f16_e32 v126, 0xbbb2, v45
	s_mov_b32 s16, 0xb461
	v_mul_f16_e32 v205, 0xb461, v43
	s_movk_i32 s27, 0x3bb2
	s_mov_b32 s22, 0xba62
	v_mul_f16_e32 v207, 0xba62, v45
	s_mov_b32 s18, 0xb8d2
	v_mul_f16_e32 v209, 0xb8d2, v43
	s_movk_i32 s29, 0x3a62
	;; [unrolled: 5-line block ×4, first 2 shown]
	v_add_f16_e32 v17, v17, v206
	v_fma_f16 v47, v42, s2, v46
	v_fma_f16 v98, v44, s15, v96
	v_fma_f16 v46, v42, s2, -v46
	v_fma_f16 v96, v44, s6, v96
	v_fma_f16 v102, v42, s3, v100
	v_fma_f16 v106, v44, s25, v104
	v_fma_f16 v100, v42, s3, -v100
	v_fma_f16 v104, v44, s12, v104
	;; [unrolled: 4-line block ×8, first 2 shown]
	v_add_f16_e32 v47, v77, v47
	v_add_f16_sdwa v98, v77, v98 dst_sel:DWORD dst_unused:UNUSED_PAD src0_sel:WORD_1 src1_sel:DWORD
	v_add_f16_e32 v46, v77, v46
	v_add_f16_sdwa v96, v77, v96 dst_sel:DWORD dst_unused:UNUSED_PAD src0_sel:WORD_1 src1_sel:DWORD
	;; [unrolled: 2-line block ×16, first 2 shown]
	v_add_f16_e32 v44, v225, v203
	v_sub_f16_e32 v77, v225, v203
	v_sub_f16_e32 v203, v226, v204
	v_add_f16_e32 v45, v226, v204
	v_mul_f16_e32 v204, 0xb964, v203
	v_fma_f16 v217, v44, s3, v204
	v_add_f16_e32 v47, v217, v47
	v_mul_f16_e32 v217, 0x39e9, v45
	v_fma_f16 v204, v44, s3, -v204
	v_add_f16_e32 v46, v204, v46
	v_fma_f16 v204, v77, s12, v217
	v_add_f16_e32 v96, v204, v96
	v_mul_f16_e32 v204, 0xbbf7, v203
	v_fma_f16 v218, v77, s25, v217
	v_fma_f16 v217, v44, s13, v204
	v_add_f16_e32 v102, v217, v102
	v_mul_f16_e32 v217, 0x2de8, v45
	v_fma_f16 v204, v44, s13, -v204
	v_add_f16_e32 v100, v204, v100
	v_fma_f16 v204, v77, s17, v217
	v_add_f16_e32 v104, v204, v104
	v_mul_f16_e32 v204, 0xba62, v203
	v_add_f16_e32 v98, v218, v98
	v_fma_f16 v218, v77, s31, v217
	v_fma_f16 v217, v44, s18, v204
	v_add_f16_e32 v112, v217, v112
	v_mul_f16_e32 v217, 0xb8d2, v45
	v_fma_f16 v204, v44, s18, -v204
	v_add_f16_e32 v110, v204, v110
	v_fma_f16 v204, v77, s22, v217
	v_add_f16_e32 v114, v204, v114
	v_mul_f16_e32 v204, 0xb1e1, v203
	v_add_f16_e32 v106, v218, v106
	v_fma_f16 v218, v77, s29, v217
	v_fma_f16 v217, v44, s23, v204
	v_add_f16_e32 v120, v217, v120
	v_mul_f16_e32 v217, 0xbbdd, v45
	v_fma_f16 v204, v44, s23, -v204
	v_add_f16_e32 v118, v204, v118
	v_fma_f16 v204, v77, s26, v217
	v_add_f16_e32 v122, v204, v122
	v_mul_f16_e32 v204, 0x3836, v203
	v_add_f16_e32 v116, v218, v116
	v_fma_f16 v218, v77, s30, v217
	v_fma_f16 v217, v44, s21, v204
	v_add_f16_e32 v166, v217, v166
	v_mul_f16_e32 v217, 0xbacd, v45
	v_fma_f16 v204, v44, s21, -v204
	v_add_f16_e32 v126, v204, v126
	v_fma_f16 v204, v77, s28, v217
	v_add_f16_e32 v204, v204, v205
	v_mul_f16_e32 v205, 0x3bb2, v203
	v_add_f16_e32 v124, v218, v124
	v_fma_f16 v218, v77, s24, v217
	v_fma_f16 v217, v44, s16, v205
	v_add_f16_e32 v208, v217, v208
	v_mul_f16_e32 v217, 0xb461, v45
	v_fma_f16 v205, v44, s16, -v205
	v_add_f16_e32 v205, v205, v207
	v_fma_f16 v207, v77, s27, v217
	v_add_f16_e32 v207, v207, v209
	v_mul_f16_e32 v209, 0x3b29, v203
	v_add_f16_e32 v206, v218, v206
	v_fma_f16 v218, v77, s19, v217
	v_fma_f16 v217, v44, s7, v209
	v_add_f16_e32 v212, v217, v212
	v_mul_f16_e32 v217, 0x3722, v45
	v_fma_f16 v209, v44, s7, -v209
	v_add_f16_e32 v209, v209, v211
	v_fma_f16 v211, v77, s20, v217
	v_mul_f16_e32 v203, 0x35c8, v203
	v_add_f16_e32 v211, v211, v213
	v_fma_f16 v213, v44, s2, v203
	v_mul_f16_e32 v45, 0x3b76, v45
	v_fma_f16 v44, v44, s2, -v203
	v_add_f16_e32 v42, v44, v42
	v_fma_f16 v44, v77, s15, v45
	v_add_f16_e32 v210, v218, v210
	v_fma_f16 v218, v77, s14, v217
	;; [unrolled: 2-line block ×3, first 2 shown]
	v_add_f16_e32 v43, v44, v43
	v_add_f16_e32 v44, v227, v201
	v_sub_f16_e32 v77, v227, v201
	v_sub_f16_e32 v201, v228, v202
	v_add_f16_e32 v45, v228, v202
	v_mul_f16_e32 v202, 0xbb29, v201
	v_fma_f16 v203, v44, s7, v202
	v_add_f16_e32 v47, v203, v47
	v_mul_f16_e32 v203, 0x3722, v45
	v_fma_f16 v202, v44, s7, -v202
	v_add_f16_e32 v46, v202, v46
	v_fma_f16 v202, v77, s14, v203
	v_add_f16_e32 v96, v202, v96
	v_mul_f16_e32 v202, 0xba62, v201
	v_add_f16_e32 v215, v215, v216
	v_fma_f16 v216, v77, s20, v203
	v_fma_f16 v203, v44, s18, v202
	v_add_f16_e32 v102, v203, v102
	v_mul_f16_e32 v203, 0xb8d2, v45
	v_fma_f16 v202, v44, s18, -v202
	v_add_f16_e32 v100, v202, v100
	v_fma_f16 v202, v77, s22, v203
	v_add_f16_e32 v104, v202, v104
	v_mul_f16_e32 v202, 0x31e1, v201
	v_add_f16_e32 v98, v216, v98
	v_fma_f16 v216, v77, s29, v203
	;; [unrolled: 10-line block ×4, first 2 shown]
	v_fma_f16 v203, v44, s3, v202
	v_add_f16_e32 v166, v203, v166
	v_mul_f16_e32 v203, 0x39e9, v45
	v_fma_f16 v202, v44, s3, -v202
	v_add_f16_e32 v124, v216, v124
	v_fma_f16 v216, v77, s12, v203
	v_add_f16_e32 v126, v202, v126
	v_fma_f16 v202, v77, s25, v203
	v_mul_f16_e32 v203, 0xb5c8, v201
	v_add_f16_e32 v202, v202, v204
	v_fma_f16 v204, v44, s2, v203
	v_add_f16_e32 v204, v204, v208
	v_mul_f16_e32 v208, 0x3b76, v45
	v_fma_f16 v203, v44, s2, -v203
	v_add_f16_e32 v203, v203, v205
	v_fma_f16 v205, v77, s6, v208
	v_add_f16_e32 v205, v205, v207
	v_mul_f16_e32 v207, 0xbbf7, v201
	v_add_f16_e32 v206, v216, v206
	v_fma_f16 v216, v77, s15, v208
	v_fma_f16 v208, v44, s13, v207
	v_add_f16_e32 v208, v208, v212
	v_mul_f16_e32 v212, 0x2de8, v45
	v_fma_f16 v207, v44, s13, -v207
	v_add_f16_e32 v207, v207, v209
	v_fma_f16 v209, v77, s17, v212
	v_mul_f16_e32 v201, 0xb836, v201
	v_add_f16_e32 v209, v209, v211
	v_fma_f16 v211, v44, s21, v201
	v_mul_f16_e32 v45, 0xbacd, v45
	v_fma_f16 v44, v44, s21, -v201
	v_add_f16_e32 v42, v44, v42
	v_fma_f16 v44, v77, s24, v45
	v_add_f16_e32 v210, v216, v210
	v_fma_f16 v216, v77, s31, v212
	v_fma_f16 v212, v77, s28, v45
	v_add_f16_e32 v43, v44, v43
	v_add_f16_e32 v44, v229, v199
	v_sub_f16_e32 v77, v229, v199
	v_sub_f16_e32 v199, v230, v200
	v_add_f16_e32 v45, v230, v200
	v_mul_f16_e32 v200, 0xbbf7, v199
	v_fma_f16 v201, v44, s13, v200
	v_add_f16_e32 v47, v201, v47
	v_mul_f16_e32 v201, 0x2de8, v45
	v_fma_f16 v200, v44, s13, -v200
	v_add_f16_e32 v46, v200, v46
	v_fma_f16 v200, v77, s17, v201
	v_add_f16_e32 v96, v200, v96
	v_mul_f16_e32 v200, 0xb1e1, v199
	v_add_f16_e32 v211, v211, v213
	v_fma_f16 v213, v77, s31, v201
	v_fma_f16 v201, v44, s23, v200
	v_add_f16_e32 v102, v201, v102
	v_mul_f16_e32 v201, 0xbbdd, v45
	v_fma_f16 v200, v44, s23, -v200
	v_add_f16_e32 v100, v200, v100
	v_fma_f16 v200, v77, s26, v201
	v_add_f16_e32 v104, v200, v104
	v_mul_f16_e32 v200, 0x3bb2, v199
	v_add_f16_e32 v98, v213, v98
	v_fma_f16 v213, v77, s30, v201
	v_fma_f16 v201, v44, s16, v200
	v_add_f16_e32 v112, v201, v112
	v_mul_f16_e32 v201, 0xb461, v45
	v_fma_f16 v200, v44, s16, -v200
	v_add_f16_e32 v110, v200, v110
	v_fma_f16 v200, v77, s27, v201
	v_add_f16_e32 v114, v200, v114
	v_mul_f16_e32 v200, 0x35c8, v199
	v_add_f16_e32 v106, v213, v106
	v_fma_f16 v213, v77, s19, v201
	v_fma_f16 v201, v44, s2, v200
	v_add_f16_e32 v120, v201, v120
	v_mul_f16_e32 v201, 0x3b76, v45
	v_fma_f16 v200, v44, s2, -v200
	v_add_f16_e32 v118, v200, v118
	v_fma_f16 v200, v77, s15, v201
	v_add_f16_e32 v122, v200, v122
	v_mul_f16_e32 v200, 0xbb29, v199
	v_add_f16_e32 v116, v213, v116
	v_fma_f16 v213, v77, s6, v201
	v_fma_f16 v201, v44, s7, v200
	v_add_f16_e32 v166, v201, v166
	v_mul_f16_e32 v201, 0x3722, v45
	v_fma_f16 v200, v44, s7, -v200
	v_add_f16_e32 v124, v213, v124
	v_fma_f16 v213, v77, s20, v201
	v_add_f16_e32 v126, v200, v126
	v_fma_f16 v200, v77, s14, v201
	v_mul_f16_e32 v201, 0xb836, v199
	v_add_f16_e32 v200, v200, v202
	v_fma_f16 v202, v44, s21, v201
	v_add_f16_e32 v202, v202, v204
	v_mul_f16_e32 v204, 0xbacd, v45
	v_fma_f16 v201, v44, s21, -v201
	v_add_f16_e32 v206, v213, v206
	v_fma_f16 v213, v77, s28, v204
	v_add_f16_e32 v201, v201, v203
	v_fma_f16 v203, v77, s24, v204
	v_mul_f16_e32 v204, 0x3a62, v199
	v_add_f16_e32 v203, v203, v205
	v_fma_f16 v205, v44, s18, v204
	v_add_f16_e32 v205, v205, v208
	v_mul_f16_e32 v208, 0xb8d2, v45
	v_fma_f16 v204, v44, s18, -v204
	v_mul_f16_e32 v199, 0x3964, v199
	v_add_f16_e32 v210, v213, v210
	v_fma_f16 v213, v77, s22, v208
	v_add_f16_e32 v204, v204, v207
	v_fma_f16 v207, v77, s29, v208
	v_fma_f16 v208, v44, s3, v199
	v_mul_f16_e32 v45, 0x39e9, v45
	v_fma_f16 v44, v44, s3, -v199
	v_add_f16_e32 v207, v207, v209
	v_fma_f16 v209, v77, s12, v45
	v_add_f16_e32 v42, v44, v42
	v_fma_f16 v44, v77, s25, v45
	v_add_f16_e32 v45, v195, v197
	v_sub_f16_e32 v195, v195, v197
	v_add_f16_e32 v43, v44, v43
	v_add_f16_e32 v44, v231, v196
	v_sub_f16_e32 v77, v231, v196
	v_mul_f16_e32 v196, 0xbbb2, v195
	v_fma_f16 v197, v44, s16, v196
	v_add_f16_e32 v47, v197, v47
	v_mul_f16_e32 v197, 0xb461, v45
	v_fma_f16 v196, v44, s16, -v196
	v_add_f16_e32 v46, v196, v46
	v_fma_f16 v196, v77, s19, v197
	v_add_f16_e32 v96, v196, v96
	v_mul_f16_e32 v196, 0x3836, v195
	v_fma_f16 v199, v77, s27, v197
	v_fma_f16 v197, v44, s21, v196
	v_add_f16_e32 v102, v197, v102
	v_mul_f16_e32 v197, 0xbacd, v45
	v_fma_f16 v196, v44, s21, -v196
	v_add_f16_e32 v100, v196, v100
	v_fma_f16 v196, v77, s28, v197
	v_add_f16_e32 v104, v196, v104
	v_mul_f16_e32 v196, 0x3964, v195
	v_add_f16_e32 v98, v199, v98
	v_fma_f16 v199, v77, s24, v197
	v_fma_f16 v197, v44, s3, v196
	v_add_f16_e32 v112, v197, v112
	v_mul_f16_e32 v197, 0x39e9, v45
	v_fma_f16 v196, v44, s3, -v196
	v_add_f16_e32 v110, v196, v110
	v_fma_f16 v196, v77, s25, v197
	v_add_f16_e32 v114, v196, v114
	v_mul_f16_e32 v196, 0xbb29, v195
	v_add_f16_e32 v106, v199, v106
	;; [unrolled: 10-line block ×3, first 2 shown]
	v_fma_f16 v199, v77, s20, v197
	v_fma_f16 v197, v44, s23, v196
	v_add_f16_e32 v166, v197, v166
	v_mul_f16_e32 v197, 0xbbdd, v45
	v_fma_f16 v196, v44, s23, -v196
	v_add_f16_e32 v124, v199, v124
	v_fma_f16 v199, v77, s30, v197
	v_add_f16_e32 v126, v196, v126
	v_fma_f16 v196, v77, s26, v197
	v_mul_f16_e32 v197, 0x3bf7, v195
	v_add_f16_e32 v196, v196, v200
	v_fma_f16 v200, v44, s13, v197
	v_add_f16_e32 v200, v200, v202
	v_mul_f16_e32 v202, 0x2de8, v45
	v_fma_f16 v197, v44, s13, -v197
	v_add_f16_e32 v199, v199, v206
	v_fma_f16 v206, v77, s17, v202
	v_add_f16_e32 v197, v197, v201
	v_fma_f16 v201, v77, s31, v202
	v_mul_f16_e32 v202, 0xb5c8, v195
	v_add_f16_e32 v201, v201, v203
	v_fma_f16 v203, v44, s2, v202
	v_add_f16_e32 v203, v203, v205
	v_mul_f16_e32 v205, 0x3b76, v45
	v_fma_f16 v202, v44, s2, -v202
	v_mul_f16_e32 v195, 0xba62, v195
	v_add_f16_e32 v206, v206, v210
	v_fma_f16 v210, v77, s15, v205
	v_add_f16_e32 v202, v202, v204
	v_fma_f16 v204, v77, s6, v205
	v_fma_f16 v205, v44, s18, v195
	v_mul_f16_e32 v45, 0xb8d2, v45
	v_fma_f16 v44, v44, s18, -v195
	v_add_f16_e32 v42, v44, v42
	v_fma_f16 v44, v77, s22, v45
	v_add_f16_e32 v204, v204, v207
	v_fma_f16 v207, v77, s29, v45
	v_add_f16_e32 v43, v44, v43
	v_add_f16_e32 v44, v125, v193
	v_sub_f16_e32 v77, v125, v193
	v_sub_f16_e32 v125, v192, v194
	v_add_f16_e32 v45, v192, v194
	v_mul_f16_e32 v192, 0xba62, v125
	v_fma_f16 v193, v44, s18, v192
	v_add_f16_e32 v47, v193, v47
	v_mul_f16_e32 v193, 0xb8d2, v45
	v_fma_f16 v192, v44, s18, -v192
	v_add_f16_e32 v46, v192, v46
	v_fma_f16 v192, v77, s22, v193
	v_add_f16_e32 v96, v192, v96
	v_mul_f16_e32 v192, 0x3bb2, v125
	v_fma_f16 v194, v77, s29, v193
	v_fma_f16 v193, v44, s16, v192
	v_add_f16_e32 v102, v193, v102
	v_mul_f16_e32 v193, 0xb461, v45
	v_fma_f16 v192, v44, s16, -v192
	v_add_f16_e32 v100, v192, v100
	v_fma_f16 v192, v77, s27, v193
	v_add_f16_e32 v104, v192, v104
	v_mul_f16_e32 v192, 0xb5c8, v125
	v_add_f16_e32 v98, v194, v98
	v_fma_f16 v194, v77, s19, v193
	v_fma_f16 v193, v44, s2, v192
	v_add_f16_e32 v112, v193, v112
	v_mul_f16_e32 v193, 0x3b76, v45
	v_fma_f16 v192, v44, s2, -v192
	v_add_f16_e32 v110, v192, v110
	v_fma_f16 v192, v77, s6, v193
	v_add_f16_e32 v114, v192, v114
	v_mul_f16_e32 v192, 0xb836, v125
	v_add_f16_e32 v106, v194, v106
	;; [unrolled: 10-line block ×3, first 2 shown]
	v_fma_f16 v194, v77, s28, v193
	v_fma_f16 v193, v44, s13, v192
	v_add_f16_e32 v166, v193, v166
	v_mul_f16_e32 v193, 0x2de8, v45
	v_fma_f16 v192, v44, s13, -v192
	v_add_f16_e32 v124, v194, v124
	v_fma_f16 v194, v77, s17, v193
	v_add_f16_e32 v126, v192, v126
	v_fma_f16 v192, v77, s31, v193
	v_mul_f16_e32 v193, 0xb964, v125
	v_add_f16_e32 v192, v192, v196
	v_fma_f16 v195, v44, s3, v193
	v_mul_f16_e32 v196, 0x39e9, v45
	v_fma_f16 v193, v44, s3, -v193
	v_add_f16_e32 v194, v194, v199
	v_fma_f16 v199, v77, s25, v196
	v_add_f16_e32 v193, v193, v197
	v_fma_f16 v196, v77, s12, v196
	v_mul_f16_e32 v197, 0xb1e1, v125
	v_add_f16_e32 v195, v195, v200
	v_add_f16_e32 v196, v196, v201
	v_fma_f16 v200, v44, s23, v197
	v_mul_f16_e32 v201, 0xbbdd, v45
	v_fma_f16 v197, v44, s23, -v197
	v_mul_f16_e32 v125, 0x3b29, v125
	v_add_f16_e32 v200, v200, v203
	v_fma_f16 v203, v77, s30, v201
	v_add_f16_e32 v197, v197, v202
	v_fma_f16 v201, v77, s26, v201
	v_fma_f16 v202, v44, s7, v125
	v_mul_f16_e32 v45, 0x3722, v45
	v_fma_f16 v44, v44, s7, -v125
	v_add_f16_e32 v201, v201, v204
	v_fma_f16 v204, v77, s14, v45
	v_add_f16_e32 v42, v44, v42
	v_fma_f16 v44, v77, s20, v45
	v_add_f16_e32 v45, v121, v107
	v_sub_f16_e32 v107, v121, v107
	v_add_f16_e32 v43, v44, v43
	v_add_f16_e32 v44, v119, v123
	v_sub_f16_e32 v77, v119, v123
	v_mul_f16_e32 v119, 0xb836, v107
	v_fma_f16 v121, v44, s21, v119
	v_add_f16_e32 v47, v121, v47
	v_mul_f16_e32 v121, 0xbacd, v45
	v_fma_f16 v119, v44, s21, -v119
	v_add_f16_e32 v119, v119, v46
	v_fma_f16 v46, v77, s24, v121
	v_add_f16_e32 v96, v46, v96
	v_mul_f16_e32 v46, 0x3b29, v107
	v_fma_f16 v123, v77, s28, v121
	v_fma_f16 v121, v44, s7, v46
	v_add_f16_e32 v102, v121, v102
	v_mul_f16_e32 v121, 0x3722, v45
	v_add_f16_e32 v98, v123, v98
	v_fma_f16 v123, v77, s14, v121
	v_fma_f16 v46, v44, s7, -v46
	v_add_f16_e32 v106, v123, v106
	v_add_f16_e32 v123, v46, v100
	v_fma_f16 v46, v77, s20, v121
	v_add_f16_e32 v104, v46, v104
	v_mul_f16_e32 v46, 0xbbf7, v107
	v_fma_f16 v100, v44, s13, v46
	v_add_f16_e32 v112, v100, v112
	v_mul_f16_e32 v100, 0x2de8, v45
	v_fma_f16 v46, v44, s13, -v46
	v_add_f16_e32 v110, v46, v110
	v_fma_f16 v46, v77, s17, v100
	v_add_f16_e32 v114, v46, v114
	v_mul_f16_e32 v46, 0x3a62, v107
	v_fma_f16 v121, v77, s31, v100
	v_fma_f16 v100, v44, s18, v46
	v_add_f16_e32 v120, v100, v120
	v_mul_f16_e32 v100, 0xb8d2, v45
	v_fma_f16 v46, v44, s18, -v46
	v_add_f16_e32 v118, v46, v118
	v_fma_f16 v46, v77, s29, v100
	v_add_f16_e32 v122, v46, v122
	v_mul_f16_e32 v46, 0xb5c8, v107
	v_add_f16_e32 v116, v121, v116
	v_fma_f16 v121, v77, s22, v100
	v_fma_f16 v100, v44, s2, v46
	v_add_f16_e32 v121, v121, v124
	v_add_f16_e32 v124, v100, v166
	v_mul_f16_e32 v100, 0x3b76, v45
	v_fma_f16 v46, v44, s2, -v46
	v_add_f16_e32 v126, v46, v126
	v_fma_f16 v46, v77, s6, v100
	v_add_f16_e32 v166, v46, v192
	v_mul_f16_e32 v46, 0xb1e1, v107
	v_fma_f16 v125, v77, s15, v100
	v_fma_f16 v100, v44, s23, v46
	v_add_f16_e32 v192, v100, v195
	v_mul_f16_e32 v100, 0xbbdd, v45
	v_fma_f16 v46, v44, s23, -v46
	v_add_f16_e32 v193, v46, v193
	v_fma_f16 v46, v77, s26, v100
	v_add_f16_e32 v195, v46, v196
	v_mul_f16_e32 v46, 0x3964, v107
	v_add_f16_e32 v214, v218, v214
	v_add_f16_e32 v125, v125, v194
	v_fma_f16 v194, v77, s30, v100
	v_fma_f16 v100, v44, s3, v46
	v_add_f16_e32 v214, v216, v214
	v_add_f16_e32 v196, v100, v200
	v_mul_f16_e32 v100, 0x39e9, v45
	v_fma_f16 v46, v44, s3, -v46
	v_add_f16_e32 v212, v212, v215
	v_add_f16_e32 v213, v213, v214
	;; [unrolled: 1-line block ×4, first 2 shown]
	v_fma_f16 v46, v77, s25, v100
	v_add_f16_e32 v209, v209, v212
	v_add_f16_e32 v210, v210, v213
	;; [unrolled: 1-line block ×5, first 2 shown]
	v_mul_f16_e32 v46, 0xbbb2, v107
	v_add_f16_e32 v207, v207, v209
	v_add_f16_e32 v203, v203, v210
	;; [unrolled: 1-line block ×4, first 2 shown]
	v_fma_f16 v199, v77, s12, v100
	v_fma_f16 v100, v44, s16, v46
	v_mul_f16_e32 v45, 0xb461, v45
	v_fma_f16 v44, v44, s16, -v46
	v_add_f16_e32 v204, v204, v207
	v_add_f16_e32 v199, v199, v203
	;; [unrolled: 1-line block ×3, first 2 shown]
	v_fma_f16 v100, v77, s27, v45
	v_add_f16_e32 v203, v44, v42
	v_fma_f16 v42, v77, s19, v45
	v_sub_f16_e32 v208, v111, v117
	v_add_f16_e32 v202, v100, v204
	v_add_f16_e32 v204, v42, v43
	;; [unrolled: 1-line block ×3, first 2 shown]
	v_mul_f16_e32 v42, 0xb1e1, v208
	v_add_f16_e32 v206, v111, v117
	v_fma_f16 v43, v205, s23, v42
	v_sub_f16_e32 v207, v113, v115
	v_add_f16_e32 v46, v43, v47
	v_mul_f16_e32 v43, 0xbbdd, v206
	v_fma_f16 v44, v207, s30, v43
	v_add_f16_e32 v47, v44, v98
	v_mul_f16_e32 v44, 0x35c8, v208
	v_fma_f16 v45, v205, s2, v44
	;; [unrolled: 3-line block ×3, first 2 shown]
	v_fma_f16 v43, v207, s26, v43
	v_add_f16_e32 v100, v77, v106
	v_mul_f16_e32 v77, 0xb836, v208
	v_add_f16_e32 v43, v43, v96
	v_fma_f16 v96, v205, s21, v77
	v_fma_f16 v45, v207, s15, v45
	v_add_f16_e32 v102, v96, v112
	v_mul_f16_e32 v96, 0xbacd, v206
	v_mul_f16_e32 v112, 0xba62, v208
	v_add_f16_e32 v45, v45, v104
	v_fma_f16 v104, v207, s28, v96
	v_fma_f16 v96, v207, s24, v96
	;; [unrolled: 1-line block ×3, first 2 shown]
	v_add_f16_e32 v96, v96, v114
	v_add_f16_e32 v114, v113, v124
	v_mul_f16_e32 v113, 0xb8d2, v206
	v_fma_f16 v115, v207, s29, v113
	v_fma_f16 v113, v207, s22, v113
	v_add_f16_e32 v107, v104, v116
	v_add_f16_e32 v113, v113, v166
	v_mul_f16_e32 v116, 0x3b29, v208
	v_mul_f16_e32 v166, 0x2de8, v206
	v_add_f16_e32 v115, v115, v125
	v_fma_f16 v117, v205, s7, v116
	v_fma_f16 v125, v207, s17, v166
	;; [unrolled: 1-line block ×3, first 2 shown]
	v_add_f16_e32 v117, v117, v192
	v_fma_f16 v116, v205, s7, -v116
	v_add_f16_e32 v192, v166, v204
	v_add_f16_e32 v166, v78, v103
	;; [unrolled: 1-line block ×3, first 2 shown]
	v_add_f16_sdwa v193, v78, v105 dst_sel:DWORD dst_unused:UNUSED_PAD src0_sel:WORD_1 src1_sel:DWORD
	v_add_f16_e32 v166, v166, v99
	v_add_f16_e32 v193, v193, v101
	;; [unrolled: 1-line block ×15, first 2 shown]
	v_mul_f16_e32 v104, 0x3964, v208
	v_add_f16_e32 v193, v193, v21
	v_add_f16_e32 v166, v166, v24
	v_fma_f16 v77, v205, s21, -v77
	v_fma_f16 v106, v205, s3, v104
	v_add_f16_e32 v193, v193, v25
	v_add_f16_e32 v166, v166, v28
	;; [unrolled: 1-line block ×4, first 2 shown]
	v_mul_f16_e32 v106, 0x39e9, v206
	v_fma_f16 v104, v205, s3, -v104
	v_add_f16_e32 v193, v193, v29
	v_add_f16_e32 v166, v166, v32
	v_fma_f16 v42, v205, s23, -v42
	v_fma_f16 v111, v207, s12, v106
	v_add_f16_e32 v104, v104, v118
	v_fma_f16 v106, v207, s25, v106
	v_fma_f16 v112, v205, s18, -v112
	v_mul_f16_e32 v118, 0x3722, v206
	v_add_f16_e32 v193, v193, v33
	v_add_f16_e32 v166, v166, v36
	;; [unrolled: 1-line block ×3, first 2 shown]
	v_fma_f16 v44, v205, s2, -v44
	v_add_f16_e32 v111, v111, v121
	v_add_f16_e32 v106, v106, v122
	;; [unrolled: 1-line block ×3, first 2 shown]
	v_fma_f16 v119, v207, s14, v118
	v_fma_f16 v118, v207, s20, v118
	v_mul_f16_e32 v121, 0xbbb2, v208
	v_mul_f16_e32 v122, 0xb461, v206
	;; [unrolled: 1-line block ×3, first 2 shown]
	v_add_f16_e32 v193, v193, v37
	v_add_f16_e32 v166, v166, v38
	;; [unrolled: 1-line block ×4, first 2 shown]
	v_fma_f16 v120, v205, s16, v121
	v_fma_f16 v123, v207, s27, v122
	;; [unrolled: 1-line block ×3, first 2 shown]
	v_fma_f16 v126, v205, s13, -v126
	v_add_f16_e32 v193, v193, v39
	v_add_f16_e32 v166, v166, v40
	;; [unrolled: 1-line block ×3, first 2 shown]
	v_sub_f16_e32 v105, v105, v109
	v_add_f16_e32 v119, v119, v194
	v_add_f16_e32 v120, v120, v196
	;; [unrolled: 1-line block ×3, first 2 shown]
	v_fma_f16 v121, v205, s16, -v121
	v_fma_f16 v122, v207, s19, v122
	v_add_f16_e32 v124, v124, v201
	v_add_f16_e32 v126, v126, v203
	;; [unrolled: 1-line block ×5, first 2 shown]
	v_sub_f16_e32 v103, v103, v108
	v_mul_f16_e32 v108, 0xb5c8, v105
	v_mul_f16_e32 v196, 0x3b76, v195
	;; [unrolled: 1-line block ×16, first 2 shown]
	v_add_f16_e32 v121, v121, v197
	v_add_f16_e32 v122, v122, v200
	;; [unrolled: 1-line block ×4, first 2 shown]
	v_fma_f16 v109, v166, s2, v108
	v_fma_f16 v197, v103, s15, v196
	v_fma_f16 v108, v166, s2, -v108
	v_fma_f16 v196, v103, s6, v196
	v_fma_f16 v200, v166, s3, v199
	v_fma_f16 v202, v103, s25, v201
	v_fma_f16 v199, v166, s3, -v199
	v_fma_f16 v201, v103, s12, v201
	;; [unrolled: 4-line block ×8, first 2 shown]
	v_add_f16_e32 v166, v101, v41
	v_sub_f16_e32 v41, v101, v41
	v_add_f16_e32 v109, v78, v109
	v_add_f16_sdwa v197, v78, v197 dst_sel:DWORD dst_unused:UNUSED_PAD src0_sel:WORD_1 src1_sel:DWORD
	v_add_f16_e32 v108, v78, v108
	v_add_f16_sdwa v196, v78, v196 dst_sel:DWORD dst_unused:UNUSED_PAD src0_sel:WORD_1 src1_sel:DWORD
	;; [unrolled: 2-line block ×16, first 2 shown]
	v_add_f16_e32 v103, v99, v40
	v_sub_f16_e32 v40, v99, v40
	v_mul_f16_e32 v99, 0xb964, v41
	v_fma_f16 v101, v103, s3, v99
	v_add_f16_e32 v101, v101, v109
	v_mul_f16_e32 v109, 0x39e9, v166
	v_fma_f16 v99, v103, s3, -v99
	v_fma_f16 v195, v40, s25, v109
	v_add_f16_e32 v99, v99, v108
	v_fma_f16 v108, v40, s12, v109
	v_mul_f16_e32 v109, 0xbbf7, v41
	v_add_f16_e32 v195, v195, v197
	v_add_f16_e32 v108, v108, v196
	v_fma_f16 v196, v103, s13, v109
	v_mul_f16_e32 v197, 0x2de8, v166
	v_fma_f16 v109, v103, s13, -v109
	v_add_f16_e32 v196, v196, v200
	v_fma_f16 v200, v40, s31, v197
	v_add_f16_e32 v109, v109, v199
	v_fma_f16 v197, v40, s17, v197
	v_mul_f16_e32 v199, 0xba62, v41
	v_add_f16_e32 v200, v200, v202
	v_add_f16_e32 v197, v197, v201
	v_fma_f16 v201, v103, s18, v199
	v_mul_f16_e32 v202, 0xb8d2, v166
	v_fma_f16 v199, v103, s18, -v199
	v_add_f16_e32 v201, v201, v204
	;; [unrolled: 10-line block ×5, first 2 shown]
	v_fma_f16 v216, v40, s19, v214
	v_add_f16_e32 v211, v211, v215
	v_fma_f16 v214, v40, s27, v214
	v_mul_f16_e32 v215, 0x3b29, v41
	v_add_f16_e32 v216, v216, v218
	v_add_f16_e32 v214, v214, v217
	v_fma_f16 v217, v103, s7, v215
	v_mul_f16_e32 v218, 0x3722, v166
	v_add_f16_e32 v217, v217, v220
	v_fma_f16 v220, v40, s14, v218
	v_fma_f16 v215, v103, s7, -v215
	v_fma_f16 v218, v40, s20, v218
	v_mul_f16_e32 v41, 0x35c8, v41
	v_mul_f16_e32 v166, 0x3b76, v166
	v_add_f16_e32 v215, v215, v219
	v_add_f16_e32 v218, v218, v221
	v_fma_f16 v219, v103, s2, v41
	v_fma_f16 v221, v40, s6, v166
	v_fma_f16 v41, v103, s2, -v41
	v_fma_f16 v40, v40, s15, v166
	v_add_f16_e32 v103, v97, v39
	v_sub_f16_e32 v39, v97, v39
	v_add_f16_e32 v40, v40, v78
	v_add_f16_e32 v78, v95, v38
	v_sub_f16_e32 v38, v95, v38
	v_mul_f16_e32 v95, 0xbb29, v39
	v_fma_f16 v97, v78, s7, v95
	v_add_f16_e32 v97, v97, v101
	v_mul_f16_e32 v101, 0x3722, v103
	v_fma_f16 v95, v78, s7, -v95
	v_add_f16_e32 v41, v41, v105
	v_fma_f16 v105, v38, s20, v101
	v_add_f16_e32 v95, v95, v99
	v_fma_f16 v99, v38, s14, v101
	v_mul_f16_e32 v101, 0xba62, v39
	v_add_f16_e32 v99, v99, v108
	v_fma_f16 v108, v78, s18, v101
	v_mul_f16_e32 v166, 0xb8d2, v103
	v_fma_f16 v101, v78, s18, -v101
	v_add_f16_e32 v105, v105, v195
	v_fma_f16 v195, v38, s29, v166
	v_add_f16_e32 v101, v101, v109
	v_fma_f16 v109, v38, s22, v166
	v_mul_f16_e32 v166, 0x31e1, v39
	v_add_f16_e32 v108, v108, v196
	v_fma_f16 v196, v78, s23, v166
	v_fma_f16 v166, v78, s23, -v166
	v_add_f16_e32 v109, v109, v197
	v_mul_f16_e32 v197, 0xbbdd, v103
	v_add_f16_e32 v166, v166, v199
	v_mul_f16_e32 v199, 0x3bb2, v39
	v_add_f16_e32 v195, v195, v200
	v_add_f16_e32 v196, v196, v201
	v_fma_f16 v200, v38, s26, v197
	v_fma_f16 v197, v38, s30, v197
	v_fma_f16 v201, v78, s16, v199
	v_fma_f16 v199, v78, s16, -v199
	v_add_f16_e32 v197, v197, v202
	v_mul_f16_e32 v202, 0xb461, v103
	v_add_f16_e32 v199, v199, v203
	v_mul_f16_e32 v203, 0x3964, v39
	v_add_f16_e32 v200, v200, v204
	v_add_f16_e32 v201, v201, v205
	v_fma_f16 v204, v38, s19, v202
	v_fma_f16 v202, v38, s27, v202
	;; [unrolled: 10-line block ×4, first 2 shown]
	v_fma_f16 v213, v78, s13, v211
	v_fma_f16 v211, v78, s13, -v211
	v_mul_f16_e32 v39, 0xb836, v39
	v_add_f16_e32 v210, v210, v214
	v_mul_f16_e32 v214, 0x2de8, v103
	v_add_f16_e32 v211, v211, v215
	v_fma_f16 v215, v78, s21, v39
	v_mul_f16_e32 v103, 0xbacd, v103
	v_fma_f16 v39, v78, s21, -v39
	v_add_f16_e32 v212, v212, v216
	v_add_f16_e32 v213, v213, v217
	v_fma_f16 v216, v38, s31, v214
	v_fma_f16 v214, v38, s17, v214
	;; [unrolled: 1-line block ×3, first 2 shown]
	v_add_f16_e32 v39, v39, v41
	v_fma_f16 v38, v38, s24, v103
	v_add_f16_e32 v41, v35, v37
	v_sub_f16_e32 v35, v35, v37
	v_add_f16_e32 v38, v38, v40
	v_add_f16_e32 v40, v34, v36
	v_sub_f16_e32 v34, v34, v36
	v_mul_f16_e32 v36, 0xbbf7, v35
	v_fma_f16 v37, v40, s13, v36
	v_mul_f16_e32 v78, 0x2de8, v41
	v_fma_f16 v36, v40, s13, -v36
	v_add_f16_e32 v37, v37, v97
	v_fma_f16 v97, v34, s31, v78
	v_add_f16_e32 v36, v36, v95
	v_fma_f16 v78, v34, s17, v78
	v_mul_f16_e32 v95, 0xb1e1, v35
	v_add_f16_e32 v78, v78, v99
	v_fma_f16 v99, v40, s23, v95
	v_mul_f16_e32 v103, 0xbbdd, v41
	v_fma_f16 v95, v40, s23, -v95
	v_add_f16_e32 v97, v97, v105
	v_fma_f16 v105, v34, s30, v103
	v_add_f16_e32 v95, v95, v101
	v_fma_f16 v101, v34, s26, v103
	v_mul_f16_e32 v103, 0x3bb2, v35
	v_add_f16_e32 v99, v99, v108
	v_fma_f16 v108, v40, s16, v103
	v_fma_f16 v103, v40, s16, -v103
	v_add_f16_e32 v101, v101, v109
	v_mul_f16_e32 v109, 0xb461, v41
	v_add_f16_e32 v103, v103, v166
	v_mul_f16_e32 v166, 0x35c8, v35
	v_add_f16_e32 v105, v105, v195
	v_add_f16_e32 v108, v108, v196
	v_fma_f16 v195, v34, s19, v109
	v_fma_f16 v109, v34, s27, v109
	v_fma_f16 v196, v40, s2, v166
	v_fma_f16 v166, v40, s2, -v166
	v_add_f16_e32 v109, v109, v197
	v_mul_f16_e32 v197, 0x3b76, v41
	v_add_f16_e32 v166, v166, v199
	v_mul_f16_e32 v199, 0xbb29, v35
	v_add_f16_e32 v195, v195, v200
	v_add_f16_e32 v196, v196, v201
	v_fma_f16 v200, v34, s6, v197
	v_fma_f16 v197, v34, s15, v197
	;; [unrolled: 10-line block ×4, first 2 shown]
	v_fma_f16 v209, v40, s18, v207
	v_fma_f16 v207, v40, s18, -v207
	v_mul_f16_e32 v35, 0x3964, v35
	v_add_f16_e32 v206, v206, v210
	v_mul_f16_e32 v210, 0xb8d2, v41
	v_add_f16_e32 v207, v207, v211
	v_fma_f16 v211, v40, s3, v35
	v_mul_f16_e32 v41, 0x39e9, v41
	v_fma_f16 v35, v40, s3, -v35
	v_add_f16_e32 v208, v208, v212
	v_add_f16_e32 v209, v209, v213
	v_fma_f16 v212, v34, s22, v210
	v_fma_f16 v210, v34, s29, v210
	;; [unrolled: 1-line block ×3, first 2 shown]
	v_add_f16_e32 v35, v35, v39
	v_fma_f16 v34, v34, s25, v41
	v_add_f16_e32 v39, v31, v33
	v_sub_f16_e32 v31, v31, v33
	v_add_f16_e32 v34, v34, v38
	v_add_f16_e32 v38, v30, v32
	v_sub_f16_e32 v30, v30, v32
	v_mul_f16_e32 v32, 0xbbb2, v31
	v_fma_f16 v33, v38, s16, v32
	v_add_f16_e32 v33, v33, v37
	v_mul_f16_e32 v37, 0xb461, v39
	v_fma_f16 v32, v38, s16, -v32
	v_fma_f16 v40, v30, s27, v37
	v_add_f16_e32 v32, v32, v36
	v_fma_f16 v36, v30, s19, v37
	v_mul_f16_e32 v37, 0x3836, v31
	v_fma_f16 v41, v38, s21, v37
	v_fma_f16 v37, v38, s21, -v37
	v_add_f16_e32 v36, v36, v78
	v_mul_f16_e32 v78, 0xbacd, v39
	v_add_f16_e32 v37, v37, v95
	v_mul_f16_e32 v95, 0x3964, v31
	v_add_f16_e32 v40, v40, v97
	v_add_f16_e32 v41, v41, v99
	v_fma_f16 v97, v30, s24, v78
	v_fma_f16 v78, v30, s28, v78
	v_fma_f16 v99, v38, s3, v95
	v_fma_f16 v95, v38, s3, -v95
	v_add_f16_e32 v78, v78, v101
	v_mul_f16_e32 v101, 0x39e9, v39
	v_add_f16_e32 v95, v95, v103
	v_mul_f16_e32 v103, 0xbb29, v31
	v_add_f16_e32 v97, v97, v105
	v_add_f16_e32 v99, v99, v108
	v_fma_f16 v105, v30, s12, v101
	v_fma_f16 v101, v30, s25, v101
	;; [unrolled: 10-line block ×5, first 2 shown]
	v_fma_f16 v205, v38, s2, v203
	v_fma_f16 v203, v38, s2, -v203
	v_mul_f16_e32 v31, 0xba62, v31
	v_add_f16_e32 v202, v202, v206
	v_mul_f16_e32 v206, 0x3b76, v39
	v_add_f16_e32 v203, v203, v207
	v_fma_f16 v207, v38, s18, v31
	v_mul_f16_e32 v39, 0xb8d2, v39
	v_fma_f16 v31, v38, s18, -v31
	v_add_f16_e32 v204, v204, v208
	v_add_f16_e32 v205, v205, v209
	v_fma_f16 v208, v30, s15, v206
	v_fma_f16 v206, v30, s6, v206
	;; [unrolled: 1-line block ×3, first 2 shown]
	v_add_f16_e32 v31, v31, v35
	v_fma_f16 v30, v30, s22, v39
	v_add_f16_e32 v35, v27, v29
	v_sub_f16_e32 v27, v27, v29
	v_add_f16_e32 v30, v30, v34
	v_add_f16_e32 v34, v26, v28
	v_sub_f16_e32 v26, v26, v28
	v_mul_f16_e32 v28, 0xba62, v27
	v_fma_f16 v29, v34, s18, v28
	v_add_f16_e32 v29, v29, v33
	v_mul_f16_e32 v33, 0xb8d2, v35
	v_fma_f16 v28, v34, s18, -v28
	v_fma_f16 v38, v26, s29, v33
	v_add_f16_e32 v28, v28, v32
	v_fma_f16 v32, v26, s22, v33
	v_mul_f16_e32 v33, 0x3bb2, v27
	v_add_f16_e32 v32, v32, v36
	v_fma_f16 v36, v34, s16, v33
	v_mul_f16_e32 v39, 0xb461, v35
	v_fma_f16 v33, v34, s16, -v33
	v_add_f16_e32 v38, v38, v40
	v_fma_f16 v40, v26, s19, v39
	v_add_f16_e32 v33, v33, v37
	v_fma_f16 v37, v26, s27, v39
	v_mul_f16_e32 v39, 0xb5c8, v27
	v_add_f16_e32 v36, v36, v41
	v_fma_f16 v41, v34, s2, v39
	v_fma_f16 v39, v34, s2, -v39
	v_add_f16_e32 v37, v37, v78
	v_mul_f16_e32 v78, 0x3b76, v35
	v_add_f16_e32 v39, v39, v95
	v_mul_f16_e32 v95, 0xb836, v27
	v_add_f16_e32 v40, v40, v97
	v_add_f16_e32 v41, v41, v99
	v_fma_f16 v97, v26, s15, v78
	v_fma_f16 v78, v26, s6, v78
	v_fma_f16 v99, v34, s21, v95
	v_fma_f16 v95, v34, s21, -v95
	v_add_f16_e32 v78, v78, v101
	v_mul_f16_e32 v101, 0xbacd, v35
	v_add_f16_e32 v95, v95, v103
	v_mul_f16_e32 v103, 0x3bf7, v27
	v_add_f16_e32 v97, v97, v105
	v_add_f16_e32 v99, v99, v108
	v_fma_f16 v105, v26, s28, v101
	v_fma_f16 v101, v26, s24, v101
	;; [unrolled: 10-line block ×4, first 2 shown]
	v_fma_f16 v201, v34, s23, v199
	v_fma_f16 v199, v34, s23, -v199
	v_mul_f16_e32 v27, 0x3b29, v27
	v_add_f16_e32 v197, v197, v202
	v_mul_f16_e32 v202, 0xbbdd, v35
	v_add_f16_e32 v199, v199, v203
	v_fma_f16 v203, v34, s7, v27
	v_mul_f16_e32 v35, 0x3722, v35
	v_fma_f16 v27, v34, s7, -v27
	v_add_f16_e32 v200, v200, v204
	v_add_f16_e32 v201, v201, v205
	v_fma_f16 v204, v26, s30, v202
	v_fma_f16 v202, v26, s26, v202
	v_fma_f16 v205, v26, s14, v35
	v_add_f16_e32 v27, v27, v31
	v_fma_f16 v26, v26, s20, v35
	v_add_f16_e32 v31, v23, v25
	v_sub_f16_e32 v23, v23, v25
	v_add_f16_e32 v26, v26, v30
	v_add_f16_e32 v30, v22, v24
	v_sub_f16_e32 v22, v22, v24
	v_mul_f16_e32 v24, 0xb836, v23
	v_fma_f16 v25, v30, s21, v24
	v_add_f16_e32 v25, v25, v29
	v_mul_f16_e32 v29, 0xbacd, v31
	v_fma_f16 v24, v30, s21, -v24
	v_fma_f16 v34, v22, s28, v29
	v_add_f16_e32 v24, v24, v28
	v_fma_f16 v28, v22, s24, v29
	v_mul_f16_e32 v29, 0x3b29, v23
	v_add_f16_e32 v28, v28, v32
	v_fma_f16 v32, v30, s7, v29
	v_mul_f16_e32 v35, 0x3722, v31
	v_fma_f16 v29, v30, s7, -v29
	v_add_f16_e32 v32, v32, v36
	v_fma_f16 v36, v22, s14, v35
	v_add_f16_e32 v29, v29, v33
	v_fma_f16 v33, v22, s20, v35
	v_mul_f16_e32 v35, 0xbbf7, v23
	v_add_f16_e32 v33, v33, v37
	v_fma_f16 v37, v30, s13, v35
	v_fma_f16 v35, v30, s13, -v35
	v_add_f16_e32 v34, v34, v38
	v_mul_f16_e32 v38, 0x2de8, v31
	v_add_f16_e32 v35, v35, v39
	v_mul_f16_e32 v39, 0x3a62, v23
	v_add_f16_e32 v36, v36, v40
	v_add_f16_e32 v37, v37, v41
	v_fma_f16 v40, v22, s31, v38
	v_fma_f16 v38, v22, s17, v38
	v_fma_f16 v41, v30, s18, v39
	v_fma_f16 v39, v30, s18, -v39
	v_add_f16_e32 v38, v38, v78
	v_mul_f16_e32 v78, 0xb8d2, v31
	v_add_f16_e32 v39, v39, v95
	v_mul_f16_e32 v95, 0xb5c8, v23
	v_add_f16_e32 v40, v40, v97
	v_add_f16_e32 v41, v41, v99
	v_fma_f16 v97, v22, s22, v78
	v_fma_f16 v78, v22, s29, v78
	;; [unrolled: 10-line block ×4, first 2 shown]
	v_fma_f16 v196, v30, s3, v166
	v_fma_f16 v166, v30, s3, -v166
	v_mul_f16_e32 v23, 0xbbb2, v23
	v_add_f16_e32 v109, v109, v197
	v_mul_f16_e32 v197, 0x39e9, v31
	v_add_f16_e32 v166, v166, v199
	v_fma_f16 v199, v30, s16, v23
	v_mul_f16_e32 v31, 0xb461, v31
	v_fma_f16 v23, v30, s16, -v23
	v_add_f16_e32 v195, v195, v200
	v_add_f16_e32 v196, v196, v201
	v_fma_f16 v200, v22, s12, v197
	v_fma_f16 v197, v22, s25, v197
	;; [unrolled: 1-line block ×3, first 2 shown]
	v_add_f16_e32 v23, v23, v27
	v_fma_f16 v22, v22, s19, v31
	v_add_f16_e32 v27, v19, v21
	v_sub_f16_e32 v19, v19, v21
	v_add_f16_e32 v22, v22, v26
	v_add_f16_e32 v26, v18, v20
	v_sub_f16_e32 v18, v18, v20
	v_mul_f16_e32 v20, 0xb1e1, v19
	v_fma_f16 v21, v26, s23, v20
	v_add_f16_e32 v21, v21, v25
	v_mul_f16_e32 v25, 0xbbdd, v27
	v_fma_f16 v20, v26, s23, -v20
	v_fma_f16 v30, v18, s30, v25
	v_add_f16_e32 v20, v20, v24
	v_fma_f16 v24, v18, s26, v25
	v_mul_f16_e32 v25, 0x35c8, v19
	v_add_f16_e32 v24, v24, v28
	v_fma_f16 v28, v26, s2, v25
	v_mul_f16_e32 v31, 0x3b76, v27
	v_fma_f16 v25, v26, s2, -v25
	v_pack_b32_f16 v16, v16, v17
	v_pack_b32_f16 v17, v46, v47
	v_add_f16_e32 v30, v30, v34
	v_add_f16_e32 v28, v28, v32
	v_fma_f16 v32, v18, s6, v31
	v_add_f16_e32 v25, v25, v29
	v_fma_f16 v29, v18, s15, v31
	v_mul_f16_e32 v31, 0xb836, v19
	v_mul_f16_e32 v34, 0xbacd, v27
	s_waitcnt lgkmcnt(0)
	; wave barrier
	ds_write2_b32 v198, v16, v17 offset1:7
	v_pack_b32_f16 v16, v98, v100
	v_pack_b32_f16 v17, v102, v107
	v_add_f16_e32 v32, v32, v36
	v_add_f16_e32 v29, v29, v33
	v_fma_f16 v33, v26, s21, v31
	v_fma_f16 v36, v18, s28, v34
	v_fma_f16 v31, v26, s21, -v31
	v_fma_f16 v34, v18, s24, v34
	ds_write2_b32 v198, v16, v17 offset0:14 offset1:21
	v_pack_b32_f16 v16, v110, v111
	v_pack_b32_f16 v17, v114, v115
	v_add_f16_e32 v31, v31, v35
	v_add_f16_e32 v34, v34, v38
	v_mul_f16_e32 v35, 0x3964, v19
	v_mul_f16_e32 v38, 0x39e9, v27
	ds_write2_b32 v198, v16, v17 offset0:28 offset1:35
	v_pack_b32_f16 v16, v117, v119
	v_pack_b32_f16 v17, v120, v123
	v_add_f16_e32 v33, v33, v37
	v_add_f16_e32 v36, v36, v40
	v_fma_f16 v37, v26, s3, v35
	v_fma_f16 v40, v18, s12, v38
	v_fma_f16 v35, v26, s3, -v35
	v_fma_f16 v38, v18, s25, v38
	ds_write2_b32 v198, v16, v17 offset0:42 offset1:49
	v_pack_b32_f16 v16, v124, v125
	v_pack_b32_f16 v17, v126, v192
	v_add_f16_e32 v220, v220, v222
	v_add_f16_e32 v35, v35, v39
	;; [unrolled: 1-line block ×3, first 2 shown]
	v_mul_f16_e32 v39, 0xba62, v19
	v_mul_f16_e32 v78, 0xb8d2, v27
	ds_write2_b32 v198, v16, v17 offset0:56 offset1:63
	v_pack_b32_f16 v16, v121, v122
	v_pack_b32_f16 v17, v116, v118
	v_add_f16_e32 v219, v219, v223
	v_add_f16_e32 v221, v221, v224
	;; [unrolled: 1-line block ×5, first 2 shown]
	v_fma_f16 v41, v26, s18, v39
	v_fma_f16 v97, v18, s29, v78
	v_fma_f16 v39, v26, s18, -v39
	v_fma_f16 v78, v18, s22, v78
	ds_write2_b32 v198, v16, v17 offset0:70 offset1:77
	v_pack_b32_f16 v16, v112, v113
	v_pack_b32_f16 v17, v104, v106
	v_add_f16_e32 v215, v215, v219
	v_add_f16_e32 v217, v217, v221
	v_add_f16_e32 v212, v212, v216
	v_add_f16_e32 v39, v39, v95
	v_add_f16_e32 v78, v78, v101
	v_mul_f16_e32 v95, 0x3b29, v19
	v_mul_f16_e32 v101, 0x3722, v27
	ds_write2_b32 v198, v16, v17 offset0:84 offset1:91
	v_pack_b32_f16 v16, v77, v96
	v_pack_b32_f16 v17, v44, v45
	v_add_f16_e32 v214, v214, v218
	v_add_f16_e32 v211, v211, v215
	;; [unrolled: 1-line block ×6, first 2 shown]
	v_fma_f16 v99, v26, s7, v95
	v_fma_f16 v105, v18, s14, v101
	v_fma_f16 v95, v26, s7, -v95
	v_fma_f16 v101, v18, s20, v101
	ds_write2_b32 v198, v16, v17 offset0:98 offset1:105
	v_pack_b32_f16 v16, v42, v43
	v_add_f16_e32 v210, v210, v214
	v_add_f16_e32 v207, v207, v211
	;; [unrolled: 1-line block ×6, first 2 shown]
	v_mul_f16_e32 v103, 0xbbb2, v19
	v_mul_f16_e32 v109, 0xb461, v27
	ds_write_b32 v198, v16 offset:448
	v_pack_b32_f16 v16, v193, v194
	v_pack_b32_f16 v17, v21, v30
	v_add_f16_e32 v206, v206, v210
	v_add_f16_e32 v203, v203, v207
	;; [unrolled: 1-line block ×6, first 2 shown]
	v_fma_f16 v108, v26, s16, v103
	v_fma_f16 v195, v18, s27, v109
	v_fma_f16 v103, v26, s16, -v103
	v_mul_f16_e32 v19, 0x3bf7, v19
	v_mul_f16_e32 v27, 0x2de8, v27
	ds_write2_b32 v183, v16, v17 offset1:7
	v_pack_b32_f16 v16, v28, v32
	v_pack_b32_f16 v17, v33, v36
	v_add_f16_e32 v202, v202, v206
	v_add_f16_e32 v199, v199, v203
	;; [unrolled: 1-line block ×6, first 2 shown]
	v_fma_f16 v109, v18, s19, v109
	v_fma_f16 v166, v26, s13, v19
	;; [unrolled: 1-line block ×3, first 2 shown]
	v_fma_f16 v19, v26, s13, -v19
	v_fma_f16 v18, v18, s31, v27
	ds_write2_b32 v183, v16, v17 offset0:14 offset1:21
	v_pack_b32_f16 v16, v37, v40
	v_pack_b32_f16 v17, v41, v97
	v_add_f16_e32 v197, v197, v202
	v_add_f16_e32 v166, v166, v199
	;; [unrolled: 1-line block ×5, first 2 shown]
	ds_write2_b32 v183, v16, v17 offset0:28 offset1:35
	v_pack_b32_f16 v16, v99, v105
	v_pack_b32_f16 v17, v108, v195
	v_add_f16_e32 v109, v109, v197
	ds_write2_b32 v183, v16, v17 offset0:42 offset1:49
	v_pack_b32_f16 v16, v166, v196
	v_pack_b32_f16 v17, v19, v18
	ds_write2_b32 v183, v16, v17 offset0:56 offset1:63
	v_pack_b32_f16 v16, v103, v109
	v_pack_b32_f16 v17, v95, v101
	;; [unrolled: 3-line block ×4, first 2 shown]
	v_add_u32_e32 v187, 0x88, v127
	v_add_u32_e32 v186, 0xcc, v127
	;; [unrolled: 1-line block ×5, first 2 shown]
	ds_write2_b32 v183, v16, v17 offset0:98 offset1:105
	v_pack_b32_f16 v16, v20, v24
	ds_write_b32 v183, v16 offset:448
	s_and_saveexec_b64 s[0:1], vcc
	s_cbranch_execz .LBB0_9
; %bb.8:
	v_mul_f16_sdwa v16, v15, v82 dst_sel:DWORD dst_unused:UNUSED_PAD src0_sel:WORD_1 src1_sel:DWORD
	v_fma_f16 v23, v15, v169, -v16
	v_mul_f16_sdwa v16, v4, v79 dst_sel:DWORD dst_unused:UNUSED_PAD src0_sel:WORD_1 src1_sel:DWORD
	v_fma_f16 v24, v4, v244, -v16
	v_mul_f16_sdwa v16, v4, v244 dst_sel:DWORD dst_unused:UNUSED_PAD src0_sel:WORD_1 src1_sel:DWORD
	v_fma_f16 v27, v4, v79, v16
	v_mul_f16_sdwa v16, v14, v81 dst_sel:DWORD dst_unused:UNUSED_PAD src0_sel:WORD_1 src1_sel:DWORD
	v_fma_f16 v29, v14, v170, -v16
	v_mul_f16_sdwa v16, v5, v80 dst_sel:DWORD dst_unused:UNUSED_PAD src0_sel:WORD_1 src1_sel:DWORD
	v_mul_f16_sdwa v4, v15, v169 dst_sel:DWORD dst_unused:UNUSED_PAD src0_sel:WORD_1 src1_sel:DWORD
	v_fma_f16 v30, v5, v167, -v16
	v_mul_f16_sdwa v16, v5, v167 dst_sel:DWORD dst_unused:UNUSED_PAD src0_sel:WORD_1 src1_sel:DWORD
	v_add_f16_e32 v25, v23, v24
	v_fma_f16 v28, v15, v82, v4
	v_fma_f16 v33, v5, v80, v16
	v_mul_f16_sdwa v5, v14, v170 dst_sel:DWORD dst_unused:UNUSED_PAD src0_sel:WORD_1 src1_sel:DWORD
	v_mul_f16_e32 v17, 0xbbdd, v25
	v_sub_f16_e32 v4, v27, v28
	v_add_f16_e32 v31, v29, v30
	v_fma_f16 v34, v14, v81, v5
	v_fma_f16 v15, v4, s30, v17
	v_mul_f16_e32 v26, 0x3b76, v31
	v_sub_f16_e32 v5, v33, v34
	v_add_f16_e32 v15, v191, v15
	v_fma_f16 v14, v5, s6, v26
	v_add_f16_e32 v14, v14, v15
	v_mul_f16_sdwa v15, v13, v86 dst_sel:DWORD dst_unused:UNUSED_PAD src0_sel:WORD_1 src1_sel:DWORD
	v_fma_f16 v35, v13, v173, -v15
	v_mul_f16_sdwa v15, v6, v83 dst_sel:DWORD dst_unused:UNUSED_PAD src0_sel:WORD_1 src1_sel:DWORD
	v_fma_f16 v36, v6, v171, -v15
	v_mul_f16_sdwa v15, v6, v171 dst_sel:DWORD dst_unused:UNUSED_PAD src0_sel:WORD_1 src1_sel:DWORD
	v_fma_f16 v39, v6, v83, v15
	v_mul_f16_sdwa v6, v13, v173 dst_sel:DWORD dst_unused:UNUSED_PAD src0_sel:WORD_1 src1_sel:DWORD
	v_add_f16_e32 v37, v35, v36
	v_fma_f16 v40, v13, v86, v6
	v_mul_f16_e32 v16, 0xbacd, v37
	v_sub_f16_e32 v6, v39, v40
	v_fma_f16 v13, v6, s28, v16
	v_add_f16_e32 v13, v13, v14
	v_mul_f16_sdwa v14, v12, v85 dst_sel:DWORD dst_unused:UNUSED_PAD src0_sel:WORD_1 src1_sel:DWORD
	v_fma_f16 v41, v12, v174, -v14
	v_mul_f16_sdwa v14, v7, v84 dst_sel:DWORD dst_unused:UNUSED_PAD src0_sel:WORD_1 src1_sel:DWORD
	v_fma_f16 v42, v7, v172, -v14
	v_mul_f16_sdwa v14, v7, v172 dst_sel:DWORD dst_unused:UNUSED_PAD src0_sel:WORD_1 src1_sel:DWORD
	v_fma_f16 v45, v7, v84, v14
	v_mul_f16_sdwa v7, v12, v174 dst_sel:DWORD dst_unused:UNUSED_PAD src0_sel:WORD_1 src1_sel:DWORD
	v_add_f16_e32 v43, v41, v42
	v_fma_f16 v46, v12, v85, v7
	v_mul_f16_e32 v44, 0x39e9, v43
	v_sub_f16_e32 v7, v45, v46
	v_fma_f16 v12, v7, s12, v44
	v_add_f16_e32 v12, v12, v13
	v_mul_f16_sdwa v13, v11, v90 dst_sel:DWORD dst_unused:UNUSED_PAD src0_sel:WORD_1 src1_sel:DWORD
	v_fma_f16 v47, v11, v177, -v13
	v_mul_f16_sdwa v13, v0, v87 dst_sel:DWORD dst_unused:UNUSED_PAD src0_sel:WORD_1 src1_sel:DWORD
	v_fma_f16 v77, v0, v175, -v13
	v_mul_f16_sdwa v13, v0, v175 dst_sel:DWORD dst_unused:UNUSED_PAD src0_sel:WORD_1 src1_sel:DWORD
	v_fma_f16 v80, v0, v87, v13
	v_mul_f16_sdwa v0, v11, v177 dst_sel:DWORD dst_unused:UNUSED_PAD src0_sel:WORD_1 src1_sel:DWORD
	v_add_f16_e32 v78, v47, v77
	v_fma_f16 v81, v11, v90, v0
	v_mul_f16_e32 v79, 0xb8d2, v78
	v_sub_f16_e32 v0, v80, v81
	v_fma_f16 v11, v0, s29, v79
	v_add_f16_e32 v11, v11, v12
	v_mul_f16_sdwa v12, v10, v89 dst_sel:DWORD dst_unused:UNUSED_PAD src0_sel:WORD_1 src1_sel:DWORD
	v_fma_f16 v82, v10, v178, -v12
	v_mul_f16_sdwa v12, v1, v88 dst_sel:DWORD dst_unused:UNUSED_PAD src0_sel:WORD_1 src1_sel:DWORD
	v_fma_f16 v83, v1, v176, -v12
	v_mul_f16_sdwa v12, v1, v176 dst_sel:DWORD dst_unused:UNUSED_PAD src0_sel:WORD_1 src1_sel:DWORD
	v_fma_f16 v86, v1, v88, v12
	v_mul_f16_sdwa v1, v10, v178 dst_sel:DWORD dst_unused:UNUSED_PAD src0_sel:WORD_1 src1_sel:DWORD
	v_add_f16_e32 v84, v82, v83
	v_fma_f16 v87, v10, v89, v1
	v_mul_f16_e32 v85, 0x3722, v84
	v_sub_f16_e32 v10, v86, v87
	v_fma_f16 v1, v10, s14, v85
	v_add_f16_e32 v1, v1, v11
	v_mul_f16_sdwa v11, v9, v94 dst_sel:DWORD dst_unused:UNUSED_PAD src0_sel:WORD_1 src1_sel:DWORD
	v_fma_f16 v88, v9, v180, -v11
	v_mul_f16_sdwa v11, v2, v91 dst_sel:DWORD dst_unused:UNUSED_PAD src0_sel:WORD_1 src1_sel:DWORD
	v_fma_f16 v89, v2, v179, -v11
	v_mul_f16_sdwa v11, v2, v179 dst_sel:DWORD dst_unused:UNUSED_PAD src0_sel:WORD_1 src1_sel:DWORD
	v_fma_f16 v91, v2, v91, v11
	v_mul_f16_sdwa v2, v9, v180 dst_sel:DWORD dst_unused:UNUSED_PAD src0_sel:WORD_1 src1_sel:DWORD
	v_sub_f16_e32 v100, v24, v23
	v_add_f16_e32 v24, v24, v191
	v_add_f16_e32 v90, v88, v89
	v_fma_f16 v94, v9, v94, v2
	v_add_f16_e32 v24, v30, v24
	v_mul_f16_e32 v95, 0xb461, v90
	v_sub_f16_e32 v2, v91, v94
	v_add_f16_e32 v24, v36, v24
	v_fma_f16 v9, v2, s27, v95
	v_add_f16_e32 v24, v42, v24
	v_add_f16_e32 v1, v9, v1
	v_mul_f16_sdwa v9, v8, v93 dst_sel:DWORD dst_unused:UNUSED_PAD src0_sel:WORD_1 src1_sel:DWORD
	v_add_f16_e32 v24, v77, v24
	v_fma_f16 v96, v8, v182, -v9
	v_mul_f16_sdwa v9, v3, v92 dst_sel:DWORD dst_unused:UNUSED_PAD src0_sel:WORD_1 src1_sel:DWORD
	v_add_f16_e32 v24, v83, v24
	v_fma_f16 v97, v3, v181, -v9
	v_add_f16_e32 v24, v89, v24
	v_add_f16_e32 v24, v97, v24
	;; [unrolled: 1-line block ×8, first 2 shown]
	buffer_store_dword v17, off, s[36:39], 0 offset:32 ; 4-byte Folded Spill
	v_add_f16_e32 v24, v29, v24
	v_add_f16_e32 v23, v23, v24
	buffer_load_dword v24, off, s[36:39], 0 offset:32 ; 4-byte Folded Reload
	v_fma_f16 v26, v5, s15, v26
	buffer_store_dword v16, off, s[36:39], 0 offset:40 ; 4-byte Folded Spill
	v_mul_f16_sdwa v9, v3, v181 dst_sel:DWORD dst_unused:UNUSED_PAD src0_sel:WORD_1 src1_sel:DWORD
	v_fma_f16 v92, v3, v92, v9
	v_mul_f16_sdwa v3, v8, v182 dst_sel:DWORD dst_unused:UNUSED_PAD src0_sel:WORD_1 src1_sel:DWORD
	v_add_f16_e32 v98, v96, v97
	v_fma_f16 v93, v8, v93, v3
	v_mul_f16_e32 v99, 0x2de8, v98
	v_sub_f16_e32 v3, v92, v93
	v_fma_f16 v8, v3, s17, v99
	v_add_f16_e32 v1, v8, v1
	v_add_f16_e32 v8, v28, v27
	v_mul_f16_e32 v101, 0xb1e1, v100
	v_fma_f16 v9, v8, s23, v101
	v_sub_f16_e32 v102, v30, v29
	v_add_f16_e32 v11, v190, v9
	v_add_f16_e32 v9, v34, v33
	v_mul_f16_e32 v103, 0x35c8, v102
	v_fma_f16 v12, v9, s2, v103
	v_sub_f16_e32 v104, v36, v35
	;; [unrolled: 5-line block ×7, first 2 shown]
	v_add_f16_e32 v12, v17, v12
	v_add_f16_e32 v17, v93, v92
	v_mul_f16_e32 v115, 0x3bf7, v114
	v_fma_f16 v18, v17, s13, v115
	v_mul_f16_e32 v116, 0xbacd, v25
	buffer_store_dword v1, off, s[36:39], 0 offset:4 ; 4-byte Folded Spill
	v_add_f16_e32 v1, v18, v12
	v_fma_f16 v18, v4, s28, v116
	v_mul_f16_e32 v117, 0x3722, v31
	v_add_f16_e32 v18, v191, v18
	v_fma_f16 v19, v5, s14, v117
	v_mul_f16_e32 v118, 0x2de8, v37
	;; [unrolled: 3-line block ×8, first 2 shown]
	buffer_store_dword v1, off, s[36:39], 0 offset:8 ; 4-byte Folded Spill
	v_add_f16_e32 v1, v19, v18
	v_fma_f16 v19, v8, s21, v124
	v_mul_f16_e32 v125, 0x3b29, v102
	s_waitcnt vmcnt(3)
	v_fma_f16 v24, v4, s26, v24
	v_add_f16_e32 v24, v191, v24
	v_add_f16_e32 v24, v26, v24
	buffer_load_dword v26, off, s[36:39], 0 offset:40 ; 4-byte Folded Reload
	v_add_f16_e32 v19, v190, v19
	v_fma_f16 v20, v9, s7, v125
	v_mul_f16_e32 v126, 0xbbf7, v104
	v_add_f16_e32 v19, v20, v19
	v_fma_f16 v20, v11, s13, v126
	v_mul_f16_e32 v166, 0x3a62, v106
	v_add_f16_e32 v19, v20, v19
	v_fma_f16 v20, v13, s18, v166
	v_mul_f16_e32 v38, 0xb5c8, v108
	v_add_f16_e32 v19, v20, v19
	v_fma_f16 v20, v14, s2, v38
	v_mul_f16_e32 v32, 0xb1e1, v110
	v_add_f16_e32 v19, v20, v19
	v_fma_f16 v20, v15, s23, v32
	v_mul_f16_e32 v169, 0x3964, v112
	v_add_f16_e32 v19, v20, v19
	v_fma_f16 v20, v16, s3, v169
	v_mul_f16_e32 v170, 0xbbb2, v114
	v_add_f16_e32 v19, v20, v19
	v_fma_f16 v20, v17, s16, v170
	v_mul_f16_e32 v171, 0xb8d2, v25
	buffer_store_dword v1, off, s[36:39], 0 offset:12 ; 4-byte Folded Spill
	v_add_f16_e32 v1, v20, v19
	v_fma_f16 v20, v4, s29, v171
	v_mul_f16_e32 v172, 0xb461, v31
	v_add_f16_e32 v20, v191, v20
	v_fma_f16 v21, v5, s19, v172
	v_mul_f16_e32 v173, 0x3b76, v37
	v_add_f16_e32 v20, v21, v20
	v_fma_f16 v21, v6, s15, v173
	v_mul_f16_e32 v174, 0xbacd, v43
	v_add_f16_e32 v20, v21, v20
	v_fma_f16 v21, v7, s28, v174
	v_mul_f16_e32 v175, 0x2de8, v78
	v_add_f16_e32 v20, v21, v20
	v_fma_f16 v21, v0, s17, v175
	v_mul_f16_e32 v176, 0x39e9, v84
	v_add_f16_e32 v20, v21, v20
	v_fma_f16 v21, v10, s25, v176
	v_mul_f16_e32 v177, 0xbbdd, v90
	v_add_f16_e32 v20, v21, v20
	v_fma_f16 v21, v2, s30, v177
	v_mul_f16_e32 v178, 0x3722, v98
	v_add_f16_e32 v20, v21, v20
	v_fma_f16 v21, v3, s14, v178
	v_mul_f16_e32 v179, 0xba62, v100
	buffer_store_dword v1, off, s[36:39], 0 offset:16 ; 4-byte Folded Spill
	v_add_f16_e32 v1, v21, v20
	v_fma_f16 v21, v8, s18, v179
	v_mul_f16_e32 v180, 0x3bb2, v102
	;; [unrolled: 25-line block ×3, first 2 shown]
	v_add_f16_e32 v22, v191, v22
	v_fma_f16 v197, v5, s24, v196
	v_add_f16_e32 v27, v190, v27
	v_add_f16_e32 v22, v197, v22
	v_mul_f16_e32 v197, 0x39e9, v37
	v_add_f16_e32 v27, v33, v27
	v_fma_f16 v198, v6, s12, v197
	v_add_f16_e32 v27, v39, v27
	v_add_f16_e32 v22, v198, v22
	v_mul_f16_e32 v198, 0x3722, v43
	v_add_f16_e32 v27, v45, v27
	v_fma_f16 v199, v7, s20, v198
	v_add_f16_e32 v27, v80, v27
	v_add_f16_e32 v22, v199, v22
	v_mul_f16_e32 v199, 0xbbdd, v78
	v_add_f16_e32 v27, v86, v27
	v_fma_f16 v200, v0, s30, v199
	v_add_f16_e32 v27, v91, v27
	v_add_f16_e32 v22, v200, v22
	v_mul_f16_e32 v200, 0x2de8, v84
	v_add_f16_e32 v27, v92, v27
	v_fma_f16 v201, v10, s17, v200
	v_add_f16_e32 v27, v93, v27
	s_waitcnt vmcnt(3)
	v_fma_f16 v26, v6, s24, v26
	v_add_f16_e32 v22, v201, v22
	v_mul_f16_e32 v201, 0x3b76, v90
	v_add_f16_e32 v27, v94, v27
	v_add_f16_e32 v24, v26, v24
	v_fma_f16 v26, v7, s25, v44
	v_fma_f16 v202, v2, s15, v201
	v_add_f16_e32 v27, v87, v27
	v_add_f16_e32 v24, v26, v24
	v_fma_f16 v26, v0, s22, v79
	v_add_f16_e32 v22, v202, v22
	v_mul_f16_e32 v202, 0xb8d2, v98
	v_add_f16_e32 v27, v81, v27
	v_add_f16_e32 v24, v26, v24
	v_fma_f16 v26, v10, s20, v85
	v_fma_f16 v203, v3, s29, v202
	v_add_f16_e32 v27, v46, v27
	v_add_f16_e32 v24, v26, v24
	v_fma_f16 v26, v2, s19, v95
	buffer_store_dword v1, off, s[36:39], 0 offset:24 ; 4-byte Folded Spill
	v_add_f16_e32 v1, v203, v22
	v_mul_f16_e32 v203, 0xbbb2, v100
	v_add_f16_e32 v27, v40, v27
	v_add_f16_e32 v24, v26, v24
	v_fma_f16 v26, v3, s31, v99
	v_fma_f16 v204, v8, s16, v203
	v_mul_f16_e32 v205, 0x3836, v102
	v_add_f16_e32 v27, v34, v27
	v_add_f16_e32 v24, v26, v24
	v_fma_f16 v26, v8, s23, -v101
	v_add_f16_e32 v204, v190, v204
	v_fma_f16 v206, v9, s21, v205
	v_add_f16_e32 v27, v28, v27
	v_add_f16_e32 v26, v190, v26
	v_fma_f16 v28, v9, s2, -v103
	v_add_f16_e32 v204, v206, v204
	v_mul_f16_e32 v206, 0x3964, v104
	v_add_f16_e32 v26, v28, v26
	v_fma_f16 v28, v11, s21, -v105
	v_fma_f16 v207, v11, s3, v206
	v_add_f16_e32 v26, v28, v26
	v_fma_f16 v28, v13, s3, -v107
	v_add_f16_e32 v204, v207, v204
	v_mul_f16_e32 v207, 0xbb29, v106
	v_add_f16_e32 v26, v28, v26
	v_fma_f16 v28, v14, s18, -v109
	v_fma_f16 v208, v13, s7, v207
	;; [unrolled: 7-line block ×3, first 2 shown]
	v_add_f16_e32 v26, v28, v26
	v_fma_f16 v28, v17, s13, -v115
	v_add_f16_e32 v204, v209, v204
	v_mul_f16_e32 v209, 0x3bf7, v110
	v_add_f16_e32 v26, v28, v26
	v_fma_f16 v28, v4, s24, v116
	v_fma_f16 v210, v15, s13, v209
	v_add_f16_e32 v28, v191, v28
	v_fma_f16 v29, v5, s20, v117
	v_add_f16_e32 v204, v210, v204
	v_mul_f16_e32 v210, 0xb5c8, v112
	v_add_f16_e32 v28, v29, v28
	v_fma_f16 v29, v6, s17, v118
	v_fma_f16 v211, v16, s2, v210
	v_add_f16_e32 v28, v29, v28
	v_fma_f16 v29, v7, s29, v119
	;; [unrolled: 7-line block ×3, first 2 shown]
	buffer_store_dword v1, off, s[36:39], 0 offset:28 ; 4-byte Folded Spill
	v_add_f16_e32 v1, v212, v204
	v_mul_f16_e32 v212, 0x2de8, v25
	v_add_f16_e32 v28, v29, v28
	v_fma_f16 v29, v2, s25, v122
	v_fma_f16 v213, v4, s31, v212
	v_mul_f16_e32 v214, 0xbbdd, v31
	v_add_f16_e32 v28, v29, v28
	v_fma_f16 v29, v3, s19, v123
	v_add_f16_e32 v213, v191, v213
	v_fma_f16 v215, v5, s30, v214
	v_add_f16_e32 v28, v29, v28
	v_fma_f16 v29, v8, s21, -v124
	v_add_f16_e32 v213, v215, v213
	v_mul_f16_e32 v215, 0xb461, v37
	v_add_f16_e32 v29, v190, v29
	v_fma_f16 v30, v9, s7, -v125
	v_fma_f16 v216, v6, s19, v215
	v_add_f16_e32 v29, v30, v29
	v_fma_f16 v30, v11, s13, -v126
	v_add_f16_e32 v213, v216, v213
	v_mul_f16_e32 v216, 0x3b76, v43
	v_add_f16_e32 v29, v30, v29
	v_fma_f16 v30, v13, s18, -v166
	;; [unrolled: 7-line block ×4, first 2 shown]
	v_fma_f16 v219, v10, s28, v218
	v_add_f16_e32 v29, v30, v29
	v_fma_f16 v30, v4, s22, v171
	v_add_f16_e32 v213, v219, v213
	v_mul_f16_e32 v219, 0xb8d2, v90
	v_add_f16_e32 v30, v191, v30
	v_fma_f16 v32, v5, s27, v172
	v_fma_f16 v220, v2, s22, v219
	v_add_f16_e32 v30, v32, v30
	v_fma_f16 v32, v6, s6, v173
	v_add_f16_e32 v213, v220, v213
	v_mul_f16_e32 v220, 0x39e9, v98
	v_add_f16_e32 v30, v32, v30
	v_fma_f16 v32, v7, s24, v174
	v_fma_f16 v221, v3, s12, v220
	v_add_f16_e32 v30, v32, v30
	v_fma_f16 v32, v0, s31, v175
	buffer_store_dword v1, off, s[36:39], 0 offset:36 ; 4-byte Folded Spill
	v_add_f16_e32 v1, v221, v213
	v_mul_f16_e32 v221, 0xbbf7, v100
	v_add_f16_e32 v30, v32, v30
	v_fma_f16 v32, v10, s12, v176
	v_fma_f16 v222, v8, s13, v221
	v_mul_f16_e32 v223, 0xb1e1, v102
	v_add_f16_e32 v30, v32, v30
	v_fma_f16 v32, v2, s26, v177
	v_add_f16_e32 v222, v190, v222
	v_fma_f16 v224, v9, s23, v223
	;; [unrolled: 2-line block ×3, first 2 shown]
	v_add_f16_e32 v222, v224, v222
	v_mul_f16_e32 v224, 0x3bb2, v104
	v_add_f16_e32 v30, v32, v30
	v_fma_f16 v32, v8, s18, -v179
	v_fma_f16 v225, v11, s16, v224
	v_add_f16_e32 v32, v190, v32
	v_fma_f16 v33, v9, s16, -v180
	v_add_f16_e32 v222, v225, v222
	v_mul_f16_e32 v225, 0x35c8, v106
	v_add_f16_e32 v32, v33, v32
	v_fma_f16 v33, v11, s2, -v181
	v_fma_f16 v226, v13, s2, v225
	v_add_f16_e32 v32, v33, v32
	v_fma_f16 v33, v13, s21, -v182
	;; [unrolled: 7-line block ×4, first 2 shown]
	v_add_f16_e32 v222, v228, v222
	v_mul_f16_e32 v228, 0x3a62, v112
	v_add_f16_e32 v32, v33, v32
	v_fma_f16 v33, v4, s19, v195
	v_fma_f16 v229, v16, s18, v228
	v_add_f16_e32 v33, v191, v33
	v_fma_f16 v34, v5, s28, v196
	v_add_f16_e32 v222, v229, v222
	v_mul_f16_e32 v229, 0x3964, v114
	v_add_f16_e32 v33, v34, v33
	v_fma_f16 v34, v6, s25, v197
	v_fma_f16 v230, v17, s3, v229
	v_add_f16_e32 v33, v34, v33
	v_fma_f16 v34, v7, s14, v198
	buffer_store_dword v1, off, s[36:39], 0 offset:44 ; 4-byte Folded Spill
	v_add_f16_e32 v1, v230, v222
	v_mul_f16_e32 v230, 0x3722, v25
	v_add_f16_e32 v33, v34, v33
	v_fma_f16 v34, v0, s26, v199
	v_fma_f16 v231, v4, s20, v230
	v_mul_f16_e32 v232, 0xb8d2, v31
	v_add_f16_e32 v33, v34, v33
	v_fma_f16 v34, v10, s31, v200
	v_add_f16_e32 v231, v191, v231
	v_fma_f16 v233, v5, s29, v232
	;; [unrolled: 2-line block ×3, first 2 shown]
	v_add_f16_e32 v231, v233, v231
	v_mul_f16_e32 v233, 0xbbdd, v37
	v_add_f16_e32 v33, v34, v33
	v_fma_f16 v34, v3, s22, v202
	v_fma_f16 v234, v6, s26, v233
	v_add_f16_e32 v33, v34, v33
	v_fma_f16 v34, v8, s16, -v203
	v_add_f16_e32 v231, v234, v231
	v_mul_f16_e32 v234, 0xb461, v43
	v_add_f16_e32 v34, v190, v34
	v_fma_f16 v35, v9, s21, -v205
	v_fma_f16 v235, v7, s19, v234
	v_add_f16_e32 v34, v35, v34
	v_fma_f16 v35, v11, s3, -v206
	v_add_f16_e32 v231, v235, v231
	v_mul_f16_e32 v235, 0x39e9, v78
	v_add_f16_e32 v34, v35, v34
	v_fma_f16 v35, v13, s7, -v207
	;; [unrolled: 7-line block ×4, first 2 shown]
	v_fma_f16 v238, v2, s31, v237
	v_add_f16_e32 v34, v35, v34
	v_fma_f16 v35, v4, s17, v212
	v_add_f16_e32 v231, v238, v231
	v_mul_f16_e32 v238, 0xbacd, v98
	v_add_f16_e32 v35, v191, v35
	v_fma_f16 v36, v5, s26, v214
	buffer_store_dword v239, off, s[36:39], 0 offset:52 ; 4-byte Folded Spill
	v_fma_f16 v239, v3, s28, v238
	v_add_f16_e32 v35, v36, v35
	v_fma_f16 v36, v6, s27, v215
	v_add_f16_e32 v231, v239, v231
	v_mul_f16_e32 v239, 0xbb29, v100
	v_add_f16_e32 v35, v36, v35
	v_fma_f16 v36, v7, s15, v216
	v_fma_f16 v240, v8, s7, v239
	v_mul_f16_e32 v241, 0xba62, v102
	v_add_f16_e32 v35, v36, v35
	v_fma_f16 v36, v0, s14, v217
	v_add_f16_e32 v240, v190, v240
	v_fma_f16 v242, v9, s18, v241
	;; [unrolled: 2-line block ×3, first 2 shown]
	v_add_f16_e32 v240, v242, v240
	v_mul_f16_e32 v242, 0x31e1, v104
	v_add_f16_e32 v35, v36, v35
	v_fma_f16 v36, v2, s29, v219
	v_fma_f16 v243, v11, s23, v242
	v_add_f16_e32 v35, v36, v35
	v_fma_f16 v36, v3, s25, v220
	v_add_f16_e32 v240, v243, v240
	v_mul_f16_e32 v243, 0x3bb2, v106
	v_add_f16_e32 v35, v36, v35
	v_fma_f16 v36, v8, s13, -v221
	v_fma_f16 v244, v13, s16, v243
	v_add_f16_e32 v36, v190, v36
	v_fma_f16 v38, v9, s23, -v223
	v_add_f16_e32 v240, v244, v240
	v_mul_f16_e32 v244, 0x3964, v108
	v_add_f16_e32 v36, v38, v36
	v_fma_f16 v38, v11, s16, -v224
	v_fma_f16 v245, v14, s3, v244
	v_add_f16_e32 v36, v38, v36
	v_fma_f16 v38, v13, s2, -v225
	;; [unrolled: 7-line block ×4, first 2 shown]
	v_add_f16_e32 v240, v247, v240
	v_mul_f16_e32 v247, 0xb836, v114
	v_add_f16_e32 v36, v38, v36
	v_fma_f16 v38, v4, s14, v230
	v_fma_f16 v248, v17, s21, v247
	v_add_f16_e32 v38, v191, v38
	v_fma_f16 v39, v5, s22, v232
	v_add_f16_e32 v240, v248, v240
	v_mul_f16_e32 v248, 0x39e9, v25
	v_add_f16_e32 v38, v39, v38
	v_fma_f16 v39, v6, s30, v233
	v_fma_f16 v249, v4, s25, v248
	v_mul_f16_e32 v250, 0x2de8, v31
	v_add_f16_e32 v38, v39, v38
	v_fma_f16 v39, v7, s27, v234
	v_add_f16_e32 v249, v191, v249
	v_fma_f16 v251, v5, s31, v250
	;; [unrolled: 2-line block ×3, first 2 shown]
	v_add_f16_e32 v249, v251, v249
	v_mul_f16_e32 v251, 0xb8d2, v37
	v_add_f16_e32 v38, v39, v38
	v_fma_f16 v39, v10, s6, v236
	v_fma_f16 v252, v6, s29, v251
	v_add_f16_e32 v38, v39, v38
	v_fma_f16 v39, v2, s17, v237
	v_add_f16_e32 v249, v252, v249
	v_mul_f16_e32 v252, 0xbbdd, v43
	v_add_f16_e32 v38, v39, v38
	v_fma_f16 v39, v3, s24, v238
	v_fma_f16 v253, v7, s30, v252
	v_add_f16_e32 v38, v39, v38
	v_fma_f16 v39, v8, s7, -v239
	v_add_f16_e32 v249, v253, v249
	v_mul_f16_e32 v253, 0xbacd, v78
	v_add_f16_e32 v39, v190, v39
	v_fma_f16 v40, v9, s18, -v241
	v_fma_f16 v254, v0, s24, v253
	v_add_f16_e32 v39, v40, v39
	v_fma_f16 v40, v11, s23, -v242
	v_add_f16_e32 v249, v254, v249
	v_mul_f16_e32 v254, 0xb461, v84
	v_add_f16_e32 v39, v40, v39
	v_fma_f16 v40, v13, s16, -v243
	;; [unrolled: 7-line block ×3, first 2 shown]
	v_mov_b32_e32 v204, v142
	v_fma_f16 v142, v2, s14, v255
	v_add_f16_e32 v39, v40, v39
	v_fma_f16 v40, v16, s13, -v246
	v_add_f16_e32 v142, v142, v249
	v_mul_f16_e32 v249, 0x3b76, v98
	v_add_f16_e32 v39, v40, v39
	v_fma_f16 v40, v17, s21, -v247
	v_mov_b32_e32 v19, v161
	v_mov_b32_e32 v161, v153
	;; [unrolled: 1-line block ×4, first 2 shown]
	v_fma_f16 v128, v3, s6, v249
	v_add_f16_e32 v39, v40, v39
	v_fma_f16 v40, v4, s12, v248
	v_add_f16_e32 v222, v128, v142
	v_mul_f16_e32 v142, 0xb964, v100
	v_add_f16_e32 v40, v191, v40
	v_fma_f16 v41, v5, s17, v250
	v_mov_b32_e32 v213, v185
	v_mov_b32_e32 v185, v141
	;; [unrolled: 1-line block ×3, first 2 shown]
	v_fma_f16 v129, v8, s3, v142
	v_mov_b32_e32 v20, v186
	v_mul_f16_e32 v186, 0xbbf7, v102
	v_add_f16_e32 v40, v41, v40
	v_fma_f16 v41, v6, s22, v251
	v_add_f16_e32 v129, v190, v129
	v_mov_b32_e32 v18, v164
	v_mov_b32_e32 v164, v155
	;; [unrolled: 1-line block ×4, first 2 shown]
	v_fma_f16 v131, v9, s13, v186
	v_add_f16_e32 v40, v41, v40
	v_fma_f16 v41, v7, s26, v252
	v_add_f16_e32 v129, v131, v129
	v_mul_f16_e32 v131, 0xba62, v104
	v_add_f16_e32 v40, v41, v40
	v_fma_f16 v41, v0, s28, v253
	v_mov_b32_e32 v128, v162
	v_mov_b32_e32 v162, v165
	;; [unrolled: 1-line block ×5, first 2 shown]
	v_fma_f16 v132, v11, s18, v131
	v_add_f16_e32 v40, v41, v40
	v_fma_f16 v41, v10, s27, v254
	v_add_f16_e32 v129, v132, v129
	v_mul_f16_e32 v132, 0xb1e1, v106
	v_add_f16_e32 v40, v41, v40
	v_fma_f16 v41, v2, s20, v255
	v_mov_b32_e32 v22, v163
	v_mov_b32_e32 v163, v157
	;; [unrolled: 1-line block ×4, first 2 shown]
	v_fma_f16 v133, v13, s23, v132
	v_add_f16_e32 v40, v41, v40
	v_fma_f16 v41, v3, s15, v249
	v_add_f16_e32 v129, v133, v129
	v_mul_f16_e32 v133, 0x3836, v108
	v_add_f16_e32 v40, v41, v40
	v_fma_f16 v41, v8, s3, -v142
	v_mov_b32_e32 v21, v187
	v_mov_b32_e32 v187, v147
	;; [unrolled: 1-line block ×3, first 2 shown]
	v_fma_f16 v134, v14, s21, v133
	v_add_f16_e32 v41, v190, v41
	v_fma_f16 v42, v9, s13, -v186
	v_add_f16_e32 v129, v134, v129
	v_mul_f16_e32 v134, 0x3bb2, v110
	v_add_f16_e32 v41, v42, v41
	v_fma_f16 v42, v11, s18, -v131
	v_mov_b32_e32 v188, v148
	v_mov_b32_e32 v148, v135
	v_fma_f16 v135, v15, s16, v134
	v_add_f16_e32 v41, v42, v41
	v_fma_f16 v42, v13, s23, -v132
	v_add_f16_e32 v129, v135, v129
	v_mul_f16_e32 v135, 0x3b29, v112
	v_add_f16_e32 v41, v42, v41
	v_fma_f16 v42, v14, s21, -v133
	buffer_store_dword v1, off, s[36:39], 0 offset:48 ; 4-byte Folded Spill
	v_mov_b32_e32 v1, v158
	v_mov_b32_e32 v158, v149
	;; [unrolled: 1-line block ×3, first 2 shown]
	v_fma_f16 v136, v16, s7, v135
	v_add_f16_e32 v41, v42, v41
	v_fma_f16 v42, v15, s16, -v134
	v_add_f16_e32 v129, v136, v129
	v_mul_f16_e32 v136, 0x35c8, v114
	v_add_f16_e32 v41, v42, v41
	v_fma_f16 v42, v16, s7, -v135
	v_mov_b32_e32 v189, v150
	v_mov_b32_e32 v150, v137
	v_fma_f16 v137, v17, s2, v136
	v_add_f16_e32 v41, v42, v41
	v_fma_f16 v42, v17, s2, -v136
	v_mov_b32_e32 v136, v149
	v_mov_b32_e32 v149, v158
	;; [unrolled: 1-line block ×3, first 2 shown]
	buffer_load_dword v1, off, s[36:39], 0  ; 4-byte Folded Reload
	v_mul_f16_e32 v25, 0x3b76, v25
	v_add_f16_e32 v129, v137, v129
	v_fma_f16 v137, v4, s15, v25
	v_mul_f16_e32 v31, 0x39e9, v31
	v_fma_f16 v4, v4, s6, v25
	v_add_f16_e32 v137, v191, v137
	v_mov_b32_e32 v12, v159
	v_mov_b32_e32 v159, v151
	;; [unrolled: 1-line block ×3, first 2 shown]
	v_fma_f16 v138, v5, s25, v31
	v_mul_f16_e32 v37, 0x3722, v37
	v_add_f16_e32 v4, v191, v4
	v_fma_f16 v5, v5, s12, v31
	v_add_f16_e32 v137, v138, v137
	v_fma_f16 v138, v6, s20, v37
	v_mul_f16_e32 v43, 0x2de8, v43
	v_add_f16_e32 v4, v5, v4
	v_fma_f16 v5, v6, s14, v37
	v_add_f16_e32 v137, v138, v137
	;; [unrolled: 5-line block ×5, first 2 shown]
	v_fma_f16 v138, v2, s28, v90
	v_mul_f16_e32 v98, 0xbbdd, v98
	v_add_f16_e32 v0, v4, v0
	v_fma_f16 v2, v2, s24, v90
	v_mul_f16_e32 v100, 0xb5c8, v100
	v_add_f16_e32 v0, v2, v0
	;; [unrolled: 3-line block ×3, first 2 shown]
	v_fma_f16 v2, v8, s2, -v100
	v_add_f16_e32 v137, v138, v137
	v_fma_f16 v138, v3, s30, v98
	v_mul_f16_e32 v104, 0xbb29, v104
	v_add_f16_e32 v2, v190, v2
	v_fma_f16 v3, v9, s3, -v102
	v_mul_f16_e32 v106, 0xbbf7, v106
	v_add_f16_e32 v2, v3, v2
	v_fma_f16 v3, v11, s7, -v104
	;; [unrolled: 3-line block ×6, first 2 shown]
	v_add_f16_e32 v2, v3, v2
	v_fma_f16 v3, v17, s23, -v114
	v_add_f16_e32 v2, v3, v2
	v_add_f16_e32 v137, v138, v137
	v_fma_f16 v138, v8, s2, v100
	v_add_f16_e32 v138, v190, v138
	v_mov_b32_e32 v167, v184
	v_mov_b32_e32 v184, v76
	;; [unrolled: 1-line block ×5, first 2 shown]
	v_fma_f16 v139, v9, s3, v102
	v_add_f16_e32 v138, v139, v138
	v_fma_f16 v139, v11, s7, v104
	v_add_f16_e32 v138, v139, v138
	s_waitcnt vmcnt(0)
	v_and_b32_e32 v3, 0xff, v1
	buffer_load_dword v1, off, s[36:39], 0 offset:52 ; 4-byte Folded Reload
	v_fma_f16 v139, v13, s13, v106
	v_add_f16_e32 v138, v139, v138
	v_fma_f16 v139, v14, s16, v108
	v_add_f16_e32 v138, v139, v138
	;; [unrolled: 2-line block ×5, first 2 shown]
	v_pack_b32_f16 v4, v27, v23
	v_pack_b32_f16 v5, v138, v137
	v_add_f16_e32 v41, v42, v41
	v_mov_b32_e32 v139, v152
	v_mov_b32_e32 v152, v160
	;; [unrolled: 1-line block ×34, first 2 shown]
	v_pack_b32_f16 v0, v2, v0
	s_waitcnt vmcnt(0)
	v_lshl_add_u32 v3, v3, 2, v1
	v_add_u32_e32 v6, 0x400, v3
	ds_write2_b32 v6, v4, v5 offset0:220 offset1:227
	v_pack_b32_f16 v4, v129, v222
	v_pack_b32_f16 v5, v240, v231
	ds_write2_b32 v6, v4, v5 offset0:234 offset1:241
	buffer_load_dword v1, off, s[36:39], 0 offset:44 ; 4-byte Folded Reload
	buffer_load_dword v4, off, s[36:39], 0 offset:48 ; 4-byte Folded Reload
	v_mov_b32_e32 v129, v141
	v_mov_b32_e32 v141, v185
	v_mov_b32_e32 v185, v213
	s_waitcnt vmcnt(0)
	v_pack_b32_f16 v4, v4, v1
	buffer_load_dword v1, off, s[36:39], 0 offset:28 ; 4-byte Folded Reload
	buffer_load_dword v5, off, s[36:39], 0 offset:36 ; 4-byte Folded Reload
	s_waitcnt vmcnt(0)
	v_pack_b32_f16 v5, v5, v1
	ds_write2_b32 v6, v4, v5 offset0:248 offset1:255
	buffer_load_dword v1, off, s[36:39], 0 offset:20 ; 4-byte Folded Reload
	buffer_load_dword v4, off, s[36:39], 0 offset:24 ; 4-byte Folded Reload
	v_add_u32_e32 v6, 0x800, v3
	s_waitcnt vmcnt(0)
	v_pack_b32_f16 v4, v4, v1
	buffer_load_dword v1, off, s[36:39], 0 offset:12 ; 4-byte Folded Reload
	buffer_load_dword v5, off, s[36:39], 0 offset:16 ; 4-byte Folded Reload
	s_waitcnt vmcnt(0)
	v_pack_b32_f16 v5, v5, v1
	ds_write2_b32 v6, v4, v5 offset0:6 offset1:13
	buffer_load_dword v1, off, s[36:39], 0 offset:4 ; 4-byte Folded Reload
	buffer_load_dword v4, off, s[36:39], 0 offset:8 ; 4-byte Folded Reload
	ds_write_b32 v3, v0 offset:2352
	s_waitcnt vmcnt(0)
	v_pack_b32_f16 v1, v4, v1
	v_pack_b32_f16 v4, v26, v24
	ds_write2_b32 v6, v1, v4 offset0:20 offset1:27
	v_pack_b32_f16 v1, v29, v28
	v_pack_b32_f16 v4, v32, v30
	ds_write2_b32 v6, v1, v4 offset0:34 offset1:41
	;; [unrolled: 3-line block ×4, first 2 shown]
.LBB0_9:
	s_or_b64 exec, exec, s[0:1]
	s_waitcnt lgkmcnt(0)
	; wave barrier
	s_waitcnt lgkmcnt(0)
	ds_read2_b32 v[2:3], v127 offset1:17
	ds_read2_b32 v[0:1], v127 offset0:102 offset1:119
	ds_read2_b32 v[4:5], v127 offset0:238 offset1:255
	v_add_u32_e32 v14, 0x400, v127
	ds_read2_b32 v[6:7], v14 offset0:84 offset1:101
	ds_read2_b32 v[10:11], v14 offset0:220 offset1:237
	;; [unrolled: 1-line block ×3, first 2 shown]
	s_waitcnt lgkmcnt(4)
	v_lshrrev_b32_e32 v38, 16, v1
	v_mul_f16_sdwa v102, v48, v38 dst_sel:DWORD dst_unused:UNUSED_PAD src0_sel:WORD_1 src1_sel:DWORD
	s_waitcnt lgkmcnt(3)
	v_lshrrev_b32_e32 v39, 16, v4
	v_fma_f16 v102, v48, v1, v102
	v_mul_f16_sdwa v1, v48, v1 dst_sel:DWORD dst_unused:UNUSED_PAD src0_sel:WORD_1 src1_sel:DWORD
	v_fma_f16 v1, v48, v38, -v1
	v_mul_f16_sdwa v38, v49, v39 dst_sel:DWORD dst_unused:UNUSED_PAD src0_sel:WORD_1 src1_sel:DWORD
	s_waitcnt lgkmcnt(2)
	v_lshrrev_b32_e32 v40, 16, v7
	v_fma_f16 v38, v49, v4, v38
	v_mul_f16_sdwa v4, v49, v4 dst_sel:DWORD dst_unused:UNUSED_PAD src0_sel:WORD_1 src1_sel:DWORD
	v_fma_f16 v4, v49, v39, -v4
	v_mul_f16_sdwa v39, v50, v40 dst_sel:DWORD dst_unused:UNUSED_PAD src0_sel:WORD_1 src1_sel:DWORD
	s_waitcnt lgkmcnt(1)
	v_lshrrev_b32_e32 v41, 16, v10
	v_fma_f16 v39, v50, v7, v39
	v_mul_f16_sdwa v7, v50, v7 dst_sel:DWORD dst_unused:UNUSED_PAD src0_sel:WORD_1 src1_sel:DWORD
	ds_read2_b32 v[16:17], v14 offset0:118 offset1:135
	v_fma_f16 v7, v50, v40, -v7
	v_mul_f16_sdwa v40, v51, v41 dst_sel:DWORD dst_unused:UNUSED_PAD src0_sel:WORD_1 src1_sel:DWORD
	s_waitcnt lgkmcnt(1)
	v_lshrrev_b32_e32 v43, 16, v12
	v_add_u32_e32 v9, 0x600, v127
	v_fma_f16 v40, v51, v10, v40
	v_mul_f16_sdwa v10, v51, v10 dst_sel:DWORD dst_unused:UNUSED_PAD src0_sel:WORD_1 src1_sel:DWORD
	ds_read2_b32 v[22:23], v9 offset0:126 offset1:143
	v_fma_f16 v10, v51, v41, -v10
	v_mul_f16_sdwa v41, v52, v43 dst_sel:DWORD dst_unused:UNUSED_PAD src0_sel:WORD_1 src1_sel:DWORD
	v_lshrrev_b32_e32 v44, 16, v5
	v_fma_f16 v41, v52, v12, v41
	v_mul_f16_sdwa v12, v52, v12 dst_sel:DWORD dst_unused:UNUSED_PAD src0_sel:WORD_1 src1_sel:DWORD
	ds_read2_b32 v[34:35], v127 offset0:204 offset1:221
	v_fma_f16 v12, v52, v43, -v12
	v_mul_f16_sdwa v43, v53, v44 dst_sel:DWORD dst_unused:UNUSED_PAD src0_sel:WORD_1 src1_sel:DWORD
	s_waitcnt lgkmcnt(2)
	v_lshrrev_b32_e32 v45, 16, v16
	v_fma_f16 v43, v53, v5, v43
	v_mul_f16_sdwa v5, v53, v5 dst_sel:DWORD dst_unused:UNUSED_PAD src0_sel:WORD_1 src1_sel:DWORD
	ds_read2_b32 v[30:31], v14 offset0:50 offset1:67
	v_fma_f16 v5, v53, v44, -v5
	v_mul_f16_sdwa v44, v54, v45 dst_sel:DWORD dst_unused:UNUSED_PAD src0_sel:WORD_1 src1_sel:DWORD
	s_waitcnt lgkmcnt(2)
	v_lshrrev_b32_e32 v85, 16, v23
	v_fma_f16 v44, v54, v16, v44
	v_mul_f16_sdwa v16, v54, v16 dst_sel:DWORD dst_unused:UNUSED_PAD src0_sel:WORD_1 src1_sel:DWORD
	ds_read2_b32 v[24:25], v127 offset0:170 offset1:187
	ds_read2_b32 v[36:37], v14 offset0:186 offset1:203
	v_fma_f16 v16, v54, v45, -v16
	v_mul_f16_sdwa v54, v63, v85 dst_sel:DWORD dst_unused:UNUSED_PAD src0_sel:WORD_1 src1_sel:DWORD
	v_add_u32_e32 v15, 0x800, v127
	s_waitcnt lgkmcnt(3)
	v_lshrrev_b32_e32 v92, 16, v34
	v_fma_f16 v54, v63, v23, v54
	v_mul_f16_sdwa v23, v63, v23 dst_sel:DWORD dst_unused:UNUSED_PAD src0_sel:WORD_1 src1_sel:DWORD
	ds_read2_b32 v[20:21], v14 offset0:16 offset1:33
	ds_read2_b32 v[32:33], v15 offset0:32 offset1:49
	v_fma_f16 v23, v63, v85, -v23
	v_mul_f16_sdwa v63, v56, v92 dst_sel:DWORD dst_unused:UNUSED_PAD src0_sel:WORD_1 src1_sel:DWORD
	s_waitcnt lgkmcnt(4)
	v_lshrrev_b32_e32 v93, 16, v31
	v_fma_f16 v63, v56, v34, v63
	v_mul_f16_sdwa v34, v56, v34 dst_sel:DWORD dst_unused:UNUSED_PAD src0_sel:WORD_1 src1_sel:DWORD
	v_fma_f16 v34, v56, v92, -v34
	v_mul_f16_sdwa v56, v57, v93 dst_sel:DWORD dst_unused:UNUSED_PAD src0_sel:WORD_1 src1_sel:DWORD
	v_lshrrev_b32_e32 v46, 16, v11
	ds_read2_b32 v[26:27], v14 offset0:152 offset1:169
	s_waitcnt lgkmcnt(4)
	v_lshrrev_b32_e32 v82, 16, v24
	s_waitcnt lgkmcnt(3)
	v_lshrrev_b32_e32 v94, 16, v36
	v_fma_f16 v56, v57, v31, v56
	v_mul_f16_sdwa v31, v57, v31 dst_sel:DWORD dst_unused:UNUSED_PAD src0_sel:WORD_1 src1_sel:DWORD
	v_mul_f16_sdwa v45, v55, v46 dst_sel:DWORD dst_unused:UNUSED_PAD src0_sel:WORD_1 src1_sel:DWORD
	;; [unrolled: 1-line block ×3, first 2 shown]
	v_fma_f16 v31, v57, v93, -v31
	v_mul_f16_sdwa v57, v58, v94 dst_sel:DWORD dst_unused:UNUSED_PAD src0_sel:WORD_1 src1_sel:DWORD
	s_waitcnt lgkmcnt(2)
	v_lshrrev_b32_e32 v78, 16, v20
	v_lshrrev_b32_e32 v87, 16, v25
	;; [unrolled: 1-line block ×3, first 2 shown]
	s_waitcnt lgkmcnt(1)
	v_lshrrev_b32_e32 v95, 16, v33
	v_fma_f16 v45, v55, v11, v45
	v_mul_f16_sdwa v11, v55, v11 dst_sel:DWORD dst_unused:UNUSED_PAD src0_sel:WORD_1 src1_sel:DWORD
	v_fma_f16 v51, v60, v24, v51
	v_mul_f16_sdwa v24, v60, v24 dst_sel:DWORD dst_unused:UNUSED_PAD src0_sel:WORD_1 src1_sel:DWORD
	v_fma_f16 v57, v58, v36, v57
	v_mul_f16_sdwa v36, v58, v36 dst_sel:DWORD dst_unused:UNUSED_PAD src0_sel:WORD_1 src1_sel:DWORD
	v_lshrrev_b32_e32 v79, 16, v17
	v_fma_f16 v11, v55, v46, -v11
	v_mul_f16_sdwa v48, v69, v78 dst_sel:DWORD dst_unused:UNUSED_PAD src0_sel:WORD_1 src1_sel:DWORD
	v_fma_f16 v24, v60, v82, -v24
	v_mul_f16_sdwa v55, v64, v87 dst_sel:DWORD dst_unused:UNUSED_PAD src0_sel:WORD_1 src1_sel:DWORD
	v_mul_f16_sdwa v60, v65, v88 dst_sel:DWORD dst_unused:UNUSED_PAD src0_sel:WORD_1 src1_sel:DWORD
	v_fma_f16 v36, v58, v94, -v36
	v_mul_f16_sdwa v58, v59, v95 dst_sel:DWORD dst_unused:UNUSED_PAD src0_sel:WORD_1 src1_sel:DWORD
	v_lshrrev_b32_e32 v80, 16, v22
	ds_read_b32 v96, v127 offset:2312
	v_lshrrev_b32_e32 v98, 16, v35
	v_lshrrev_b32_e32 v99, 16, v6
	;; [unrolled: 1-line block ×3, first 2 shown]
	v_fma_f16 v48, v69, v20, v48
	v_mul_f16_sdwa v20, v69, v20 dst_sel:DWORD dst_unused:UNUSED_PAD src0_sel:WORD_1 src1_sel:DWORD
	v_mul_f16_sdwa v49, v70, v79 dst_sel:DWORD dst_unused:UNUSED_PAD src0_sel:WORD_1 src1_sel:DWORD
	v_fma_f16 v55, v64, v25, v55
	v_mul_f16_sdwa v25, v64, v25 dst_sel:DWORD dst_unused:UNUSED_PAD src0_sel:WORD_1 src1_sel:DWORD
	v_fma_f16 v60, v65, v30, v60
	;; [unrolled: 2-line block ×3, first 2 shown]
	v_mul_f16_sdwa v33, v59, v33 dst_sel:DWORD dst_unused:UNUSED_PAD src0_sel:WORD_1 src1_sel:DWORD
	v_lshrrev_b32_e32 v83, 16, v21
	s_waitcnt lgkmcnt(1)
	v_lshrrev_b32_e32 v84, 16, v26
	v_fma_f16 v20, v69, v78, -v20
	v_fma_f16 v49, v70, v17, v49
	v_mul_f16_sdwa v17, v70, v17 dst_sel:DWORD dst_unused:UNUSED_PAD src0_sel:WORD_1 src1_sel:DWORD
	v_mul_f16_sdwa v50, v71, v80 dst_sel:DWORD dst_unused:UNUSED_PAD src0_sel:WORD_1 src1_sel:DWORD
	v_fma_f16 v25, v64, v87, -v25
	v_fma_f16 v30, v65, v88, -v30
	v_fma_f16 v33, v59, v95, -v33
	v_mul_f16_sdwa v59, v72, v98 dst_sel:DWORD dst_unused:UNUSED_PAD src0_sel:WORD_1 src1_sel:DWORD
	v_mul_f16_sdwa v64, v73, v99 dst_sel:DWORD dst_unused:UNUSED_PAD src0_sel:WORD_1 src1_sel:DWORD
	;; [unrolled: 1-line block ×3, first 2 shown]
	v_add_f16_e32 v69, v38, v39
	v_lshrrev_b32_e32 v77, 16, v13
	v_fma_f16 v17, v70, v79, -v17
	v_fma_f16 v50, v71, v22, v50
	v_mul_f16_sdwa v22, v71, v22 dst_sel:DWORD dst_unused:UNUSED_PAD src0_sel:WORD_1 src1_sel:DWORD
	v_mul_f16_sdwa v52, v61, v83 dst_sel:DWORD dst_unused:UNUSED_PAD src0_sel:WORD_1 src1_sel:DWORD
	;; [unrolled: 1-line block ×3, first 2 shown]
	v_fma_f16 v59, v72, v35, v59
	v_mul_f16_sdwa v35, v72, v35 dst_sel:DWORD dst_unused:UNUSED_PAD src0_sel:WORD_1 src1_sel:DWORD
	v_fma_f16 v64, v73, v6, v64
	v_mul_f16_sdwa v6, v73, v6 dst_sel:DWORD dst_unused:UNUSED_PAD src0_sel:WORD_1 src1_sel:DWORD
	;; [unrolled: 2-line block ×3, first 2 shown]
	v_fma_f16 v69, v69, -0.5, v2
	v_sub_f16_e32 v70, v1, v10
	s_mov_b32 s1, 0xbb9c
	s_movk_i32 s3, 0x3b9c
	v_lshrrev_b32_e32 v89, 16, v27
	v_lshrrev_b32_e32 v90, 16, v32
	v_mul_f16_sdwa v46, v68, v77 dst_sel:DWORD dst_unused:UNUSED_PAD src0_sel:WORD_1 src1_sel:DWORD
	v_fma_f16 v22, v71, v80, -v22
	v_fma_f16 v52, v61, v21, v52
	v_mul_f16_sdwa v21, v61, v21 dst_sel:DWORD dst_unused:UNUSED_PAD src0_sel:WORD_1 src1_sel:DWORD
	v_fma_f16 v53, v62, v26, v53
	v_mul_f16_sdwa v26, v62, v26 dst_sel:DWORD dst_unused:UNUSED_PAD src0_sel:WORD_1 src1_sel:DWORD
	v_fma_f16 v35, v72, v98, -v35
	v_fma_f16 v6, v73, v99, -v6
	;; [unrolled: 1-line block ×3, first 2 shown]
	v_fma_f16 v71, v70, s1, v69
	v_sub_f16_e32 v72, v4, v7
	s_mov_b32 s0, 0xb8b4
	v_sub_f16_e32 v73, v102, v38
	v_sub_f16_e32 v74, v40, v39
	v_fma_f16 v69, v70, s3, v69
	s_movk_i32 s6, 0x38b4
	v_fma_f16 v46, v68, v13, v46
	v_mul_f16_sdwa v13, v68, v13 dst_sel:DWORD dst_unused:UNUSED_PAD src0_sel:WORD_1 src1_sel:DWORD
	v_fma_f16 v21, v61, v83, -v21
	v_fma_f16 v26, v62, v84, -v26
	v_mul_f16_sdwa v61, v66, v89 dst_sel:DWORD dst_unused:UNUSED_PAD src0_sel:WORD_1 src1_sel:DWORD
	v_mul_f16_sdwa v62, v67, v90 dst_sel:DWORD dst_unused:UNUSED_PAD src0_sel:WORD_1 src1_sel:DWORD
	v_fma_f16 v71, v72, s0, v71
	v_add_f16_e32 v73, v73, v74
	s_movk_i32 s2, 0x34f2
	v_fma_f16 v69, v72, s6, v69
	s_waitcnt lgkmcnt(0)
	v_lshrrev_b32_e32 v101, 16, v96
	v_fma_f16 v13, v68, v77, -v13
	v_fma_f16 v61, v66, v27, v61
	v_mul_f16_sdwa v27, v66, v27 dst_sel:DWORD dst_unused:UNUSED_PAD src0_sel:WORD_1 src1_sel:DWORD
	v_fma_f16 v62, v67, v32, v62
	v_mul_f16_sdwa v32, v67, v32 dst_sel:DWORD dst_unused:UNUSED_PAD src0_sel:WORD_1 src1_sel:DWORD
	v_add_f16_e32 v68, v2, v102
	v_fma_f16 v71, v73, s2, v71
	v_fma_f16 v69, v73, s2, v69
	v_add_f16_e32 v73, v102, v40
	v_lshrrev_b32_e32 v8, 16, v2
	v_fma_f16 v27, v66, v89, -v27
	v_fma_f16 v32, v67, v90, -v32
	v_mul_f16_sdwa v66, v75, v101 dst_sel:DWORD dst_unused:UNUSED_PAD src0_sel:WORD_1 src1_sel:DWORD
	v_mul_f16_sdwa v67, v75, v96 dst_sel:DWORD dst_unused:UNUSED_PAD src0_sel:WORD_1 src1_sel:DWORD
	v_add_f16_e32 v68, v68, v38
	v_fma_f16 v2, v73, -0.5, v2
	v_fma_f16 v66, v75, v96, v66
	v_fma_f16 v67, v75, v101, -v67
	v_add_f16_e32 v68, v68, v39
	v_fma_f16 v73, v72, s3, v2
	v_sub_f16_e32 v74, v38, v102
	v_sub_f16_e32 v75, v39, v40
	v_fma_f16 v2, v72, s1, v2
	v_add_f16_e32 v72, v4, v7
	v_add_f16_e32 v68, v68, v40
	v_fma_f16 v73, v70, s0, v73
	v_add_f16_e32 v74, v74, v75
	v_fma_f16 v2, v70, s6, v2
	v_fma_f16 v72, v72, -0.5, v8
	v_sub_f16_e32 v40, v102, v40
	v_fma_f16 v73, v74, s2, v73
	v_fma_f16 v2, v74, s2, v2
	;; [unrolled: 1-line block ×3, first 2 shown]
	v_sub_f16_e32 v38, v38, v39
	v_fma_f16 v39, v38, s6, v74
	v_sub_f16_e32 v74, v1, v4
	v_sub_f16_e32 v75, v10, v7
	v_fma_f16 v72, v40, s1, v72
	v_add_f16_e32 v74, v74, v75
	v_fma_f16 v72, v38, s0, v72
	v_add_f16_e32 v70, v8, v1
	v_fma_f16 v39, v74, s2, v39
	v_fma_f16 v72, v74, s2, v72
	v_add_f16_e32 v74, v1, v10
	v_add_f16_e32 v70, v70, v4
	v_fma_f16 v8, v74, -0.5, v8
	v_add_f16_e32 v70, v70, v7
	v_fma_f16 v74, v38, s1, v8
	v_sub_f16_e32 v1, v4, v1
	v_sub_f16_e32 v4, v7, v10
	v_fma_f16 v7, v38, s3, v8
	v_add_f16_e32 v8, v43, v44
	v_add_f16_e32 v70, v70, v10
	v_fma_f16 v74, v40, s6, v74
	v_add_f16_e32 v1, v1, v4
	v_fma_f16 v8, v8, -0.5, v3
	v_sub_f16_e32 v10, v12, v11
	v_fma_f16 v4, v1, s2, v74
	v_fma_f16 v7, v40, s0, v7
	;; [unrolled: 1-line block ×3, first 2 shown]
	v_sub_f16_e32 v40, v5, v16
	v_sub_f16_e32 v74, v41, v43
	;; [unrolled: 1-line block ×3, first 2 shown]
	v_fma_f16 v8, v10, s3, v8
	v_fma_f16 v38, v40, s0, v38
	v_add_f16_e32 v74, v74, v75
	v_fma_f16 v8, v40, s6, v8
	v_fma_f16 v38, v74, s2, v38
	;; [unrolled: 1-line block ×3, first 2 shown]
	v_add_f16_e32 v74, v41, v45
	v_lshrrev_b32_e32 v42, 16, v3
	v_fma_f16 v1, v1, s2, v7
	v_add_f16_e32 v7, v3, v41
	v_fma_f16 v3, v74, -0.5, v3
	v_add_f16_e32 v7, v7, v43
	v_fma_f16 v74, v40, s3, v3
	v_fma_f16 v3, v40, s1, v3
	v_add_f16_e32 v40, v5, v16
	v_add_f16_e32 v7, v7, v44
	v_sub_f16_e32 v75, v43, v41
	v_sub_f16_e32 v77, v44, v45
	v_fma_f16 v40, v40, -0.5, v42
	v_sub_f16_e32 v41, v41, v45
	v_add_f16_e32 v7, v7, v45
	v_fma_f16 v74, v10, s0, v74
	v_add_f16_e32 v75, v75, v77
	v_fma_f16 v3, v10, s6, v3
	v_fma_f16 v45, v41, s3, v40
	v_sub_f16_e32 v43, v43, v44
	ds_read2_b32 v[18:19], v127 offset0:34 offset1:51
	v_fma_f16 v74, v75, s2, v74
	v_fma_f16 v3, v75, s2, v3
	;; [unrolled: 1-line block ×3, first 2 shown]
	v_sub_f16_e32 v45, v12, v5
	v_sub_f16_e32 v75, v11, v16
	v_fma_f16 v40, v41, s1, v40
	v_add_f16_e32 v10, v42, v12
	v_add_f16_e32 v45, v45, v75
	v_fma_f16 v40, v43, s0, v40
	v_add_f16_e32 v10, v10, v5
	v_fma_f16 v44, v45, s2, v44
	v_fma_f16 v40, v45, s2, v40
	v_add_f16_e32 v45, v12, v11
	v_add_f16_e32 v10, v10, v16
	v_fma_f16 v42, v45, -0.5, v42
	v_add_f16_e32 v10, v10, v11
	v_fma_f16 v45, v43, s1, v42
	v_sub_f16_e32 v5, v5, v12
	v_sub_f16_e32 v11, v16, v11
	v_fma_f16 v12, v43, s3, v42
	v_add_f16_e32 v16, v48, v49
	v_fma_f16 v45, v41, s6, v45
	v_add_f16_e32 v5, v5, v11
	v_fma_f16 v12, v41, s0, v12
	s_waitcnt lgkmcnt(0)
	v_fma_f16 v16, v16, -0.5, v18
	v_sub_f16_e32 v41, v13, v22
	v_fma_f16 v11, v5, s2, v45
	v_fma_f16 v42, v41, s1, v16
	v_sub_f16_e32 v43, v20, v17
	v_sub_f16_e32 v45, v46, v48
	;; [unrolled: 1-line block ×3, first 2 shown]
	v_fma_f16 v16, v41, s3, v16
	v_fma_f16 v42, v43, s0, v42
	v_add_f16_e32 v45, v45, v75
	v_fma_f16 v16, v43, s6, v16
	v_fma_f16 v42, v45, s2, v42
	;; [unrolled: 1-line block ×3, first 2 shown]
	v_add_f16_e32 v45, v46, v50
	v_lshrrev_b32_e32 v47, 16, v18
	v_fma_f16 v5, v5, s2, v12
	v_add_f16_e32 v12, v18, v46
	v_fma_f16 v18, v45, -0.5, v18
	v_add_f16_e32 v12, v12, v48
	v_fma_f16 v45, v43, s3, v18
	v_fma_f16 v18, v43, s1, v18
	v_add_f16_e32 v43, v20, v17
	v_add_f16_e32 v12, v12, v49
	v_sub_f16_e32 v75, v48, v46
	v_sub_f16_e32 v77, v49, v50
	v_fma_f16 v43, v43, -0.5, v47
	v_sub_f16_e32 v46, v46, v50
	v_add_f16_e32 v12, v12, v50
	v_fma_f16 v45, v41, s0, v45
	v_add_f16_e32 v75, v75, v77
	v_fma_f16 v18, v41, s6, v18
	v_fma_f16 v50, v46, s3, v43
	v_sub_f16_e32 v48, v48, v49
	v_fma_f16 v45, v75, s2, v45
	v_fma_f16 v18, v75, s2, v18
	v_fma_f16 v49, v48, s6, v50
	v_sub_f16_e32 v50, v13, v20
	v_sub_f16_e32 v75, v22, v17
	v_fma_f16 v43, v46, s1, v43
	v_add_f16_e32 v41, v47, v13
	v_add_f16_e32 v50, v50, v75
	v_fma_f16 v43, v48, s0, v43
	v_add_f16_e32 v41, v41, v20
	v_fma_f16 v49, v50, s2, v49
	v_fma_f16 v43, v50, s2, v43
	v_add_f16_e32 v50, v13, v22
	v_add_f16_e32 v41, v41, v17
	v_fma_f16 v47, v50, -0.5, v47
	v_add_f16_e32 v41, v41, v22
	v_fma_f16 v50, v48, s1, v47
	v_sub_f16_e32 v13, v20, v13
	v_sub_f16_e32 v17, v17, v22
	v_fma_f16 v20, v48, s3, v47
	v_add_f16_e32 v22, v52, v53
	v_fma_f16 v50, v46, s6, v50
	v_add_f16_e32 v13, v13, v17
	v_fma_f16 v20, v46, s0, v20
	v_fma_f16 v22, v22, -0.5, v19
	v_sub_f16_e32 v46, v24, v23
	v_fma_f16 v17, v13, s2, v50
	v_fma_f16 v47, v46, s1, v22
	v_sub_f16_e32 v48, v21, v26
	v_sub_f16_e32 v50, v51, v52
	;; [unrolled: 1-line block ×3, first 2 shown]
	v_fma_f16 v22, v46, s3, v22
	v_fma_f16 v47, v48, s0, v47
	v_add_f16_e32 v50, v50, v75
	v_fma_f16 v22, v48, s6, v22
	v_fma_f16 v47, v50, s2, v47
	;; [unrolled: 1-line block ×3, first 2 shown]
	v_add_f16_e32 v50, v51, v54
	v_lshrrev_b32_e32 v81, 16, v19
	v_fma_f16 v13, v13, s2, v20
	v_add_f16_e32 v20, v19, v51
	v_fma_f16 v19, v50, -0.5, v19
	v_add_f16_e32 v20, v20, v52
	v_fma_f16 v50, v48, s3, v19
	v_fma_f16 v19, v48, s1, v19
	v_add_f16_e32 v48, v21, v26
	v_add_f16_e32 v20, v20, v53
	v_sub_f16_e32 v75, v52, v51
	v_sub_f16_e32 v77, v53, v54
	v_fma_f16 v48, v48, -0.5, v81
	v_sub_f16_e32 v51, v51, v54
	v_add_f16_e32 v20, v20, v54
	v_fma_f16 v50, v46, s0, v50
	v_add_f16_e32 v75, v75, v77
	v_fma_f16 v19, v46, s6, v19
	v_fma_f16 v54, v51, s3, v48
	v_sub_f16_e32 v52, v52, v53
	ds_read2_b32 v[28:29], v127 offset0:68 offset1:85
	v_fma_f16 v50, v75, s2, v50
	v_fma_f16 v19, v75, s2, v19
	;; [unrolled: 1-line block ×3, first 2 shown]
	v_sub_f16_e32 v54, v24, v21
	v_sub_f16_e32 v75, v23, v26
	v_fma_f16 v48, v51, s1, v48
	v_add_f16_e32 v46, v81, v24
	v_add_f16_e32 v54, v54, v75
	v_fma_f16 v48, v52, s0, v48
	v_add_f16_e32 v46, v46, v21
	v_fma_f16 v53, v54, s2, v53
	v_fma_f16 v48, v54, s2, v48
	v_add_f16_e32 v54, v24, v23
	v_add_f16_e32 v46, v46, v26
	v_fma_f16 v54, v54, -0.5, v81
	v_add_f16_e32 v46, v46, v23
	v_fma_f16 v75, v52, s1, v54
	v_sub_f16_e32 v21, v21, v24
	v_sub_f16_e32 v23, v26, v23
	v_fma_f16 v24, v52, s3, v54
	v_add_f16_e32 v26, v60, v61
	v_fma_f16 v75, v51, s6, v75
	v_add_f16_e32 v21, v21, v23
	v_fma_f16 v24, v51, s0, v24
	s_waitcnt lgkmcnt(0)
	v_fma_f16 v26, v26, -0.5, v28
	v_sub_f16_e32 v51, v25, v32
	v_fma_f16 v23, v21, s2, v75
	v_fma_f16 v52, v51, s1, v26
	v_sub_f16_e32 v54, v30, v27
	v_sub_f16_e32 v75, v55, v60
	;; [unrolled: 1-line block ×3, first 2 shown]
	v_fma_f16 v26, v51, s3, v26
	v_fma_f16 v52, v54, s0, v52
	v_add_f16_e32 v75, v75, v77
	v_fma_f16 v26, v54, s6, v26
	v_fma_f16 v52, v75, s2, v52
	;; [unrolled: 1-line block ×3, first 2 shown]
	v_add_f16_e32 v75, v55, v62
	v_lshrrev_b32_e32 v86, 16, v28
	v_fma_f16 v21, v21, s2, v24
	v_add_f16_e32 v24, v28, v55
	v_fma_f16 v28, v75, -0.5, v28
	v_add_f16_e32 v24, v24, v60
	v_fma_f16 v75, v54, s3, v28
	v_fma_f16 v28, v54, s1, v28
	v_add_f16_e32 v54, v30, v27
	v_add_f16_e32 v24, v24, v61
	v_sub_f16_e32 v77, v60, v55
	v_sub_f16_e32 v78, v61, v62
	v_fma_f16 v54, v54, -0.5, v86
	v_sub_f16_e32 v55, v55, v62
	v_add_f16_e32 v24, v24, v62
	v_fma_f16 v75, v51, s0, v75
	v_add_f16_e32 v77, v77, v78
	v_fma_f16 v28, v51, s6, v28
	v_fma_f16 v62, v55, s3, v54
	v_sub_f16_e32 v60, v60, v61
	v_fma_f16 v75, v77, s2, v75
	v_fma_f16 v28, v77, s2, v28
	v_fma_f16 v61, v60, s6, v62
	v_sub_f16_e32 v62, v25, v30
	v_sub_f16_e32 v77, v32, v27
	v_fma_f16 v54, v55, s1, v54
	v_add_f16_e32 v51, v86, v25
	v_add_f16_e32 v62, v62, v77
	v_fma_f16 v54, v60, s0, v54
	v_add_f16_e32 v51, v51, v30
	v_fma_f16 v61, v62, s2, v61
	v_fma_f16 v54, v62, s2, v54
	v_add_f16_e32 v62, v25, v32
	v_add_f16_e32 v51, v51, v27
	v_fma_f16 v62, v62, -0.5, v86
	v_add_f16_e32 v51, v51, v32
	v_fma_f16 v77, v60, s1, v62
	v_sub_f16_e32 v25, v30, v25
	v_sub_f16_e32 v27, v27, v32
	v_fma_f16 v30, v60, s3, v62
	v_add_f16_e32 v32, v56, v57
	v_fma_f16 v77, v55, s6, v77
	v_add_f16_e32 v25, v25, v27
	v_fma_f16 v30, v55, s0, v30
	v_fma_f16 v32, v32, -0.5, v29
	v_sub_f16_e32 v55, v34, v33
	v_fma_f16 v27, v25, s2, v77
	v_fma_f16 v60, v55, s1, v32
	v_sub_f16_e32 v62, v31, v36
	v_sub_f16_e32 v77, v63, v56
	;; [unrolled: 1-line block ×3, first 2 shown]
	v_fma_f16 v32, v55, s3, v32
	v_fma_f16 v60, v62, s0, v60
	v_add_f16_e32 v77, v77, v78
	v_fma_f16 v32, v62, s6, v32
	v_fma_f16 v25, v25, s2, v30
	v_add_f16_e32 v30, v29, v63
	v_fma_f16 v60, v77, s2, v60
	v_fma_f16 v32, v77, s2, v32
	v_add_f16_e32 v77, v63, v58
	v_lshrrev_b32_e32 v91, 16, v29
	v_add_f16_e32 v30, v30, v56
	v_fma_f16 v29, v77, -0.5, v29
	v_add_f16_e32 v30, v30, v57
	v_fma_f16 v77, v62, s3, v29
	v_fma_f16 v29, v62, s1, v29
	v_add_f16_e32 v62, v31, v36
	v_add_f16_e32 v30, v30, v58
	v_sub_f16_e32 v78, v56, v63
	v_sub_f16_e32 v79, v57, v58
	v_fma_f16 v62, v62, -0.5, v91
	v_sub_f16_e32 v58, v63, v58
	v_fma_f16 v77, v55, s0, v77
	v_add_f16_e32 v78, v78, v79
	v_fma_f16 v29, v55, s6, v29
	v_fma_f16 v63, v58, s3, v62
	v_sub_f16_e32 v56, v56, v57
	v_fma_f16 v77, v78, s2, v77
	v_fma_f16 v29, v78, s2, v29
	;; [unrolled: 1-line block ×3, first 2 shown]
	v_sub_f16_e32 v63, v34, v31
	v_sub_f16_e32 v78, v33, v36
	v_fma_f16 v62, v58, s1, v62
	v_add_f16_e32 v55, v91, v34
	v_add_f16_e32 v63, v63, v78
	v_fma_f16 v62, v56, s0, v62
	v_add_f16_e32 v55, v55, v31
	v_fma_f16 v57, v63, s2, v57
	v_fma_f16 v62, v63, s2, v62
	v_add_f16_e32 v63, v34, v33
	v_add_f16_e32 v55, v55, v36
	v_fma_f16 v63, v63, -0.5, v91
	v_add_f16_e32 v55, v55, v33
	v_fma_f16 v78, v56, s1, v63
	v_sub_f16_e32 v31, v31, v34
	v_sub_f16_e32 v33, v36, v33
	v_add_f16_e32 v36, v64, v65
	v_fma_f16 v78, v58, s6, v78
	v_add_f16_e32 v31, v31, v33
	v_fma_f16 v34, v56, s3, v63
	v_fma_f16 v36, v36, -0.5, v0
	v_sub_f16_e32 v56, v35, v67
	v_fma_f16 v33, v31, s2, v78
	v_fma_f16 v34, v58, s0, v34
	;; [unrolled: 1-line block ×3, first 2 shown]
	v_sub_f16_e32 v63, v6, v37
	v_sub_f16_e32 v78, v59, v64
	;; [unrolled: 1-line block ×3, first 2 shown]
	v_fma_f16 v36, v56, s3, v36
	v_fma_f16 v58, v63, s0, v58
	v_add_f16_e32 v78, v78, v79
	v_fma_f16 v36, v63, s6, v36
	v_fma_f16 v58, v78, s2, v58
	;; [unrolled: 1-line block ×3, first 2 shown]
	v_add_f16_e32 v78, v59, v66
	v_lshrrev_b32_e32 v97, 16, v0
	v_fma_f16 v31, v31, s2, v34
	v_add_f16_e32 v34, v0, v59
	v_fma_f16 v0, v78, -0.5, v0
	v_add_f16_e32 v34, v34, v64
	v_fma_f16 v78, v63, s3, v0
	v_fma_f16 v0, v63, s1, v0
	v_add_f16_e32 v63, v6, v37
	v_add_f16_e32 v34, v34, v65
	v_sub_f16_e32 v79, v64, v59
	v_sub_f16_e32 v80, v65, v66
	v_fma_f16 v63, v63, -0.5, v97
	v_sub_f16_e32 v59, v59, v66
	v_add_f16_e32 v34, v34, v66
	v_fma_f16 v78, v56, s0, v78
	v_add_f16_e32 v79, v79, v80
	v_fma_f16 v0, v56, s6, v0
	v_fma_f16 v66, v59, s3, v63
	v_sub_f16_e32 v64, v64, v65
	v_fma_f16 v78, v79, s2, v78
	v_fma_f16 v0, v79, s2, v0
	;; [unrolled: 1-line block ×3, first 2 shown]
	v_sub_f16_e32 v66, v35, v6
	v_sub_f16_e32 v79, v67, v37
	v_fma_f16 v63, v59, s1, v63
	v_add_f16_e32 v66, v66, v79
	v_fma_f16 v63, v64, s0, v63
	v_add_f16_e32 v56, v97, v35
	v_fma_f16 v65, v66, s2, v65
	v_fma_f16 v63, v66, s2, v63
	v_add_f16_e32 v66, v35, v67
	v_add_f16_e32 v56, v56, v6
	v_fma_f16 v66, v66, -0.5, v97
	v_add_f16_e32 v56, v56, v37
	v_fma_f16 v79, v64, s1, v66
	v_sub_f16_e32 v6, v6, v35
	v_sub_f16_e32 v35, v37, v67
	v_fma_f16 v37, v64, s3, v66
	v_fma_f16 v79, v59, s6, v79
	v_add_f16_e32 v6, v6, v35
	v_fma_f16 v37, v59, s0, v37
	v_fma_f16 v35, v6, s2, v79
	;; [unrolled: 1-line block ×3, first 2 shown]
	v_pack_b32_f16 v37, v68, v70
	v_pack_b32_f16 v1, v2, v1
	ds_write_b32 v127, v37
	ds_write_b32 v168, v1 offset:1428
	v_pack_b32_f16 v1, v69, v72
	v_pack_b32_f16 v37, v71, v39
	;; [unrolled: 1-line block ×3, first 2 shown]
	ds_write_b32 v168, v1 offset:1904
	v_pack_b32_f16 v1, v7, v10
	ds_write_b32 v168, v37 offset:476
	ds_write_b32 v168, v4 offset:952
	;; [unrolled: 1-line block ×3, first 2 shown]
	v_pack_b32_f16 v1, v38, v44
	ds_write_b32 v168, v1 offset:544
	v_pack_b32_f16 v1, v74, v11
	ds_write_b32 v168, v1 offset:1020
	;; [unrolled: 2-line block ×3, first 2 shown]
	v_pack_b32_f16 v1, v8, v40
	v_pack_b32_f16 v2, v42, v49
	;; [unrolled: 1-line block ×3, first 2 shown]
	ds_write_b32 v168, v1 offset:1972
	ds_write2_b32 v187, v2, v3 offset0:119 offset1:238
	v_pack_b32_f16 v2, v18, v13
	v_pack_b32_f16 v3, v16, v43
	v_add_u32_e32 v4, 0x400, v187
	v_pack_b32_f16 v1, v12, v41
	ds_write2_b32 v4, v2, v3 offset0:101 offset1:220
	v_pack_b32_f16 v2, v20, v46
	ds_write2_b32 v127, v1, v2 offset0:34 offset1:51
	v_pack_b32_f16 v1, v47, v53
	v_pack_b32_f16 v2, v50, v23
	ds_write2_b32 v186, v1, v2 offset0:119 offset1:238
	v_pack_b32_f16 v1, v19, v21
	v_pack_b32_f16 v2, v22, v48
	v_add_u32_e32 v3, 0x400, v186
	ds_write2_b32 v3, v1, v2 offset0:101 offset1:220
	v_pack_b32_f16 v2, v52, v61
	v_pack_b32_f16 v3, v75, v27
	ds_write2_b32 v185, v2, v3 offset0:119 offset1:238
	v_pack_b32_f16 v2, v28, v25
	v_pack_b32_f16 v3, v26, v54
	v_add_u32_e32 v4, 0x400, v185
	v_pack_b32_f16 v1, v24, v51
	ds_write2_b32 v4, v2, v3 offset0:101 offset1:220
	v_pack_b32_f16 v2, v30, v55
	ds_write2_b32 v127, v1, v2 offset0:68 offset1:85
	v_pack_b32_f16 v1, v60, v57
	v_pack_b32_f16 v2, v77, v33
	v_add_f16_e32 v56, v56, v67
	ds_write2_b32 v184, v1, v2 offset0:119 offset1:238
	v_pack_b32_f16 v1, v29, v31
	v_pack_b32_f16 v2, v32, v62
	v_add_u32_e32 v3, 0x400, v184
	ds_write2_b32 v3, v1, v2 offset0:101 offset1:220
	v_pack_b32_f16 v1, v34, v56
	ds_write_b32 v127, v1 offset:408
	v_pack_b32_f16 v1, v58, v65
	v_pack_b32_f16 v2, v78, v35
	ds_write2_b32 v162, v1, v2 offset0:119 offset1:238
	v_pack_b32_f16 v0, v0, v6
	v_pack_b32_f16 v1, v36, v63
	v_add_u32_e32 v2, 0x400, v162
	ds_write2_b32 v2, v0, v1 offset0:101 offset1:220
	s_waitcnt lgkmcnt(0)
	; wave barrier
	s_waitcnt lgkmcnt(0)
	ds_read2_b32 v[3:4], v127 offset1:17
	s_mov_b32 s2, 0x1b89401c
	s_mov_b32 s3, 0x3f5b8940
	v_mad_u64_u32 v[5:6], s[0:1], s10, v164, 0
	s_waitcnt lgkmcnt(0)
	v_lshrrev_b32_e32 v8, 16, v3
	v_mul_f16_sdwa v0, v165, v8 dst_sel:DWORD dst_unused:UNUSED_PAD src0_sel:WORD_1 src1_sel:DWORD
	v_fma_f16 v0, v165, v3, v0
	v_cvt_f32_f16_e32 v0, v0
	s_movk_i32 s6, 0x1ff
	v_mov_b32_e32 v2, v6
	v_mad_u64_u32 v[6:7], s[0:1], s11, v164, v[2:3]
	v_cvt_f64_f32_e32 v[0:1], v0
	s_movk_i32 s7, 0xffe
	v_mul_f16_sdwa v3, v165, v3 dst_sel:DWORD dst_unused:UNUSED_PAD src0_sel:WORD_1 src1_sel:DWORD
	v_fma_f16 v3, v165, v8, -v3
	v_mul_f64 v[0:1], v[0:1], s[2:3]
	v_cvt_f32_f16_e32 v3, v3
	v_mov_b32_e32 v13, 0x7c00
	s_movk_i32 s10, 0x40f
	s_mov_b32 s11, 0x8000
	v_lshlrev_b64 v[5:6], 2, v[5:6]
	s_mul_i32 s13, s8, 0xfffff84c
	v_and_or_b32 v0, v1, s6, v0
	v_cmp_ne_u32_e32 vcc, 0, v0
	v_cndmask_b32_e64 v0, 0, 1, vcc
	v_lshrrev_b32_e32 v2, 8, v1
	v_bfe_u32 v7, v1, 20, 11
	v_and_or_b32 v0, v2, s7, v0
	v_sub_u32_e32 v10, 0x3f1, v7
	v_or_b32_e32 v2, 0x1000, v0
	v_med3_i32 v10, v10, 0, 13
	v_lshrrev_b32_e32 v11, v10, v2
	v_lshlrev_b32_e32 v10, v10, v11
	v_cmp_ne_u32_e32 vcc, v10, v2
	v_cndmask_b32_e64 v2, 0, 1, vcc
	v_add_u32_e32 v7, 0xfffffc10, v7
	v_or_b32_e32 v2, v11, v2
	v_lshl_or_b32 v10, v7, 12, v0
	v_cmp_gt_i32_e32 vcc, 1, v7
	v_cndmask_b32_e32 v2, v10, v2, vcc
	v_and_b32_e32 v10, 7, v2
	v_cmp_lt_i32_e32 vcc, 5, v10
	v_cmp_eq_u32_e64 s[0:1], 3, v10
	v_lshrrev_b32_e32 v2, 2, v2
	s_or_b64 vcc, s[0:1], vcc
	v_addc_co_u32_e32 v8, vcc, 0, v2, vcc
	v_cvt_f64_f32_e32 v[2:3], v3
	v_cmp_gt_i32_e32 vcc, 31, v7
	v_cndmask_b32_e32 v8, v13, v8, vcc
	v_cmp_ne_u32_e32 vcc, 0, v0
	v_mul_f64 v[2:3], v[2:3], s[2:3]
	v_cndmask_b32_e64 v0, 0, 1, vcc
	v_lshl_or_b32 v0, v0, 9, v13
	v_cmp_eq_u32_e32 vcc, s10, v7
	v_cndmask_b32_e32 v0, v8, v0, vcc
	v_lshrrev_b32_e32 v1, 16, v1
	v_and_or_b32 v10, v1, s11, v0
	v_and_b32_e32 v10, 0xffff, v10
	v_and_or_b32 v0, v3, s6, v2
	v_cmp_ne_u32_e32 vcc, 0, v0
	v_cndmask_b32_e64 v0, 0, 1, vcc
	v_lshrrev_b32_e32 v1, 8, v3
	v_bfe_u32 v2, v3, 20, 11
	v_and_or_b32 v0, v1, s7, v0
	v_sub_u32_e32 v7, 0x3f1, v2
	v_or_b32_e32 v1, 0x1000, v0
	v_med3_i32 v7, v7, 0, 13
	v_lshrrev_b32_e32 v8, v7, v1
	v_lshlrev_b32_e32 v7, v7, v8
	v_cmp_ne_u32_e32 vcc, v7, v1
	v_cndmask_b32_e64 v1, 0, 1, vcc
	v_add_u32_e32 v2, 0xfffffc10, v2
	v_or_b32_e32 v1, v8, v1
	v_lshl_or_b32 v7, v2, 12, v0
	v_cmp_gt_i32_e32 vcc, 1, v2
	v_cndmask_b32_e32 v1, v7, v1, vcc
	v_and_b32_e32 v7, 7, v1
	v_cmp_lt_i32_e32 vcc, 5, v7
	v_cmp_eq_u32_e64 s[0:1], 3, v7
	v_lshrrev_b32_e32 v1, 2, v1
	s_or_b64 vcc, s[0:1], vcc
	v_addc_co_u32_e32 v1, vcc, 0, v1, vcc
	v_cmp_gt_i32_e32 vcc, 31, v2
	v_cndmask_b32_e32 v1, v13, v1, vcc
	v_cmp_ne_u32_e32 vcc, 0, v0
	v_cndmask_b32_e64 v0, 0, 1, vcc
	v_lshl_or_b32 v0, v0, 9, v13
	v_cmp_eq_u32_e32 vcc, s10, v2
	v_mad_u64_u32 v[7:8], s[0:1], s8, v163, 0
	v_cndmask_b32_e32 v11, v1, v0, vcc
	ds_read2_b32 v[0:1], v127 offset0:68 offset1:85
	v_mov_b32_e32 v2, v8
	v_lshrrev_b32_e32 v12, 16, v3
	v_mad_u64_u32 v[2:3], s[0:1], s9, v163, v[2:3]
	s_waitcnt lgkmcnt(0)
	v_lshrrev_b32_e32 v18, 16, v1
	v_mul_f16_sdwa v3, v161, v18 dst_sel:DWORD dst_unused:UNUSED_PAD src0_sel:WORD_1 src1_sel:DWORD
	v_fma_f16 v3, v161, v1, v3
	v_cvt_f32_f16_e32 v3, v3
	v_mov_b32_e32 v8, v2
	v_and_or_b32 v11, v12, s11, v11
	v_lshl_or_b32 v10, v11, 16, v10
	v_cvt_f64_f32_e32 v[2:3], v3
	v_mov_b32_e32 v11, s5
	v_add_co_u32_e32 v16, vcc, s4, v5
	v_mul_f64 v[2:3], v[2:3], s[2:3]
	v_addc_co_u32_e32 v17, vcc, v11, v6, vcc
	v_lshlrev_b64 v[5:6], 2, v[7:8]
	v_mul_f16_sdwa v1, v161, v1 dst_sel:DWORD dst_unused:UNUSED_PAD src0_sel:WORD_1 src1_sel:DWORD
	v_add_co_u32_e32 v7, vcc, v16, v5
	v_addc_co_u32_e32 v8, vcc, v17, v6, vcc
	v_and_or_b32 v2, v3, s6, v2
	v_cmp_ne_u32_e32 vcc, 0, v2
	v_cndmask_b32_e64 v2, 0, 1, vcc
	v_lshrrev_b32_e32 v5, 8, v3
	v_bfe_u32 v6, v3, 20, 11
	global_store_dword v[7:8], v10, off
	v_and_or_b32 v5, v5, s7, v2
	v_sub_u32_e32 v10, 0x3f1, v6
	v_or_b32_e32 v2, 0x1000, v5
	v_med3_i32 v10, v10, 0, 13
	v_lshrrev_b32_e32 v11, v10, v2
	v_lshlrev_b32_e32 v10, v10, v11
	v_cmp_ne_u32_e32 vcc, v10, v2
	v_fma_f16 v1, v161, v18, -v1
	v_cndmask_b32_e64 v2, 0, 1, vcc
	v_add_u32_e32 v6, 0xfffffc10, v6
	v_cvt_f32_f16_e32 v1, v1
	v_or_b32_e32 v2, v11, v2
	v_lshl_or_b32 v10, v6, 12, v5
	v_cmp_gt_i32_e32 vcc, 1, v6
	v_cndmask_b32_e32 v2, v10, v2, vcc
	v_and_b32_e32 v10, 7, v2
	v_cmp_lt_i32_e32 vcc, 5, v10
	v_cmp_eq_u32_e64 s[0:1], 3, v10
	v_lshrrev_b32_e32 v10, 2, v2
	v_cvt_f64_f32_e32 v[1:2], v1
	s_or_b64 vcc, s[0:1], vcc
	v_addc_co_u32_e32 v10, vcc, 0, v10, vcc
	v_mul_f64 v[1:2], v[1:2], s[2:3]
	v_cmp_gt_i32_e32 vcc, 31, v6
	v_cndmask_b32_e32 v10, v13, v10, vcc
	v_cmp_ne_u32_e32 vcc, 0, v5
	v_cndmask_b32_e64 v5, 0, 1, vcc
	v_lshl_or_b32 v5, v5, 9, v13
	v_cmp_eq_u32_e32 vcc, s10, v6
	v_cndmask_b32_e32 v5, v10, v5, vcc
	v_and_or_b32 v1, v2, s6, v1
	v_lshrrev_b32_e32 v3, 16, v3
	v_cmp_ne_u32_e32 vcc, 0, v1
	v_and_or_b32 v3, v3, s11, v5
	v_cndmask_b32_e64 v1, 0, 1, vcc
	v_lshrrev_b32_e32 v5, 8, v2
	v_bfe_u32 v6, v2, 20, 11
	v_and_or_b32 v1, v5, s7, v1
	v_sub_u32_e32 v10, 0x3f1, v6
	v_or_b32_e32 v5, 0x1000, v1
	v_med3_i32 v10, v10, 0, 13
	v_lshrrev_b32_e32 v11, v10, v5
	v_lshlrev_b32_e32 v10, v10, v11
	v_cmp_ne_u32_e32 vcc, v10, v5
	v_cndmask_b32_e64 v5, 0, 1, vcc
	v_add_u32_e32 v10, 0xfffffc10, v6
	v_or_b32_e32 v5, v11, v5
	v_lshl_or_b32 v6, v10, 12, v1
	v_cmp_gt_i32_e32 vcc, 1, v10
	v_cndmask_b32_e32 v5, v6, v5, vcc
	v_and_b32_e32 v6, 7, v5
	v_cmp_lt_i32_e32 vcc, 5, v6
	v_cmp_eq_u32_e64 s[0:1], 3, v6
	v_lshrrev_b32_e32 v5, 2, v5
	s_or_b64 vcc, s[0:1], vcc
	v_addc_co_u32_e32 v5, vcc, 0, v5, vcc
	v_cmp_gt_i32_e32 vcc, 31, v10
	v_cndmask_b32_e32 v11, v13, v5, vcc
	ds_read2_b32 v[5:6], v127 offset0:170 offset1:187
	v_cmp_ne_u32_e32 vcc, 0, v1
	v_cndmask_b32_e64 v1, 0, 1, vcc
	v_lshl_or_b32 v1, v1, 9, v13
	v_cmp_eq_u32_e32 vcc, s10, v10
	s_waitcnt lgkmcnt(0)
	v_lshrrev_b32_e32 v10, 16, v5
	v_cndmask_b32_e32 v1, v11, v1, vcc
	v_mul_f16_sdwa v11, v76, v10 dst_sel:DWORD dst_unused:UNUSED_PAD src0_sel:WORD_1 src1_sel:DWORD
	v_fma_f16 v11, v76, v5, v11
	v_cvt_f32_f16_e32 v11, v11
	v_lshrrev_b32_e32 v2, 16, v2
	v_and_or_b32 v1, v2, s11, v1
	v_and_b32_e32 v2, 0xffff, v3
	v_lshl_or_b32 v3, v1, 16, v2
	v_cvt_f64_f32_e32 v[1:2], v11
	s_mul_i32 s0, s9, 0x154
	s_mul_hi_u32 s4, s8, 0x154
	s_add_i32 s4, s4, s0
	v_mul_f64 v[1:2], v[1:2], s[2:3]
	s_mul_i32 s5, s8, 0x154
	v_mov_b32_e32 v11, s4
	v_add_co_u32_e32 v7, vcc, s5, v7
	v_addc_co_u32_e32 v8, vcc, v8, v11, vcc
	global_store_dword v[7:8], v3, off
	v_and_or_b32 v1, v2, s6, v1
	v_cmp_ne_u32_e32 vcc, 0, v1
	v_cndmask_b32_e64 v1, 0, 1, vcc
	v_lshrrev_b32_e32 v3, 8, v2
	v_bfe_u32 v11, v2, 20, 11
	v_and_or_b32 v1, v3, s7, v1
	v_sub_u32_e32 v12, 0x3f1, v11
	v_or_b32_e32 v3, 0x1000, v1
	v_med3_i32 v12, v12, 0, 13
	v_lshrrev_b32_e32 v18, v12, v3
	v_lshlrev_b32_e32 v12, v12, v18
	v_mul_f16_sdwa v5, v76, v5 dst_sel:DWORD dst_unused:UNUSED_PAD src0_sel:WORD_1 src1_sel:DWORD
	v_cmp_ne_u32_e32 vcc, v12, v3
	v_fma_f16 v5, v76, v10, -v5
	v_cndmask_b32_e64 v3, 0, 1, vcc
	v_add_u32_e32 v12, 0xfffffc10, v11
	v_cvt_f32_f16_e32 v5, v5
	v_or_b32_e32 v3, v18, v3
	v_lshl_or_b32 v11, v12, 12, v1
	v_cmp_gt_i32_e32 vcc, 1, v12
	v_cndmask_b32_e32 v3, v11, v3, vcc
	v_and_b32_e32 v11, 7, v3
	v_cmp_lt_i32_e32 vcc, 5, v11
	v_cmp_eq_u32_e64 s[0:1], 3, v11
	v_cvt_f64_f32_e32 v[10:11], v5
	v_lshrrev_b32_e32 v3, 2, v3
	s_or_b64 vcc, s[0:1], vcc
	v_addc_co_u32_e32 v3, vcc, 0, v3, vcc
	v_mul_f64 v[10:11], v[10:11], s[2:3]
	v_cmp_gt_i32_e32 vcc, 31, v12
	v_cndmask_b32_e32 v3, v13, v3, vcc
	v_cmp_ne_u32_e32 vcc, 0, v1
	v_cndmask_b32_e64 v1, 0, 1, vcc
	v_lshl_or_b32 v1, v1, 9, v13
	v_cmp_eq_u32_e32 vcc, s10, v12
	v_cndmask_b32_e32 v1, v3, v1, vcc
	v_lshrrev_b32_e32 v2, 16, v2
	v_and_or_b32 v3, v2, s11, v1
	v_and_or_b32 v1, v11, s6, v10
	v_cmp_ne_u32_e32 vcc, 0, v1
	v_cndmask_b32_e64 v1, 0, 1, vcc
	v_lshrrev_b32_e32 v2, 8, v11
	v_and_or_b32 v5, v2, s7, v1
	v_bfe_u32 v2, v11, 20, 11
	v_sub_u32_e32 v10, 0x3f1, v2
	v_or_b32_e32 v1, 0x1000, v5
	v_med3_i32 v10, v10, 0, 13
	v_lshrrev_b32_e32 v12, v10, v1
	v_lshlrev_b32_e32 v10, v10, v12
	v_cmp_ne_u32_e32 vcc, v10, v1
	v_cndmask_b32_e64 v1, 0, 1, vcc
	v_add_u32_e32 v10, 0xfffffc10, v2
	v_or_b32_e32 v1, v12, v1
	v_lshl_or_b32 v2, v10, 12, v5
	v_cmp_gt_i32_e32 vcc, 1, v10
	v_cndmask_b32_e32 v1, v2, v1, vcc
	v_and_b32_e32 v2, 7, v1
	v_cmp_lt_i32_e32 vcc, 5, v2
	v_cmp_eq_u32_e64 s[0:1], 3, v2
	v_lshrrev_b32_e32 v1, 2, v1
	s_or_b64 vcc, s[0:1], vcc
	v_addc_co_u32_e32 v12, vcc, 0, v1, vcc
	ds_read2_b32 v[1:2], v127 offset0:238 offset1:255
	v_cmp_gt_i32_e32 vcc, 31, v10
	v_cndmask_b32_e32 v12, v13, v12, vcc
	v_cmp_ne_u32_e32 vcc, 0, v5
	v_cndmask_b32_e64 v5, 0, 1, vcc
	s_waitcnt lgkmcnt(0)
	v_lshrrev_b32_e32 v20, 16, v2
	v_mul_f16_sdwa v18, v160, v20 dst_sel:DWORD dst_unused:UNUSED_PAD src0_sel:WORD_1 src1_sel:DWORD
	v_fma_f16 v18, v160, v2, v18
	v_cvt_f32_f16_e32 v18, v18
	v_lshl_or_b32 v5, v5, 9, v13
	v_cmp_eq_u32_e32 vcc, s10, v10
	v_cndmask_b32_e32 v5, v12, v5, vcc
	v_cvt_f64_f32_e32 v[18:19], v18
	v_lshrrev_b32_e32 v10, 16, v11
	v_and_or_b32 v5, v10, s11, v5
	v_and_b32_e32 v3, 0xffff, v3
	v_mul_f64 v[10:11], v[18:19], s[2:3]
	v_lshl_or_b32 v3, v5, 16, v3
	v_mov_b32_e32 v5, s4
	v_add_co_u32_e32 v18, vcc, s5, v7
	v_addc_co_u32_e32 v19, vcc, v8, v5, vcc
	global_store_dword v[18:19], v3, off
	v_and_or_b32 v3, v11, s6, v10
	v_cmp_ne_u32_e32 vcc, 0, v3
	v_cndmask_b32_e64 v3, 0, 1, vcc
	v_lshrrev_b32_e32 v5, 8, v11
	v_bfe_u32 v7, v11, 20, 11
	v_and_or_b32 v5, v5, s7, v3
	v_sub_u32_e32 v8, 0x3f1, v7
	v_or_b32_e32 v3, 0x1000, v5
	v_med3_i32 v8, v8, 0, 13
	v_lshrrev_b32_e32 v10, v8, v3
	v_lshlrev_b32_e32 v8, v8, v10
	v_mul_f16_sdwa v2, v160, v2 dst_sel:DWORD dst_unused:UNUSED_PAD src0_sel:WORD_1 src1_sel:DWORD
	v_cmp_ne_u32_e32 vcc, v8, v3
	v_fma_f16 v2, v160, v20, -v2
	v_cndmask_b32_e64 v3, 0, 1, vcc
	v_add_u32_e32 v7, 0xfffffc10, v7
	v_cvt_f32_f16_e32 v2, v2
	v_or_b32_e32 v3, v10, v3
	v_lshl_or_b32 v8, v7, 12, v5
	v_cmp_gt_i32_e32 vcc, 1, v7
	v_cndmask_b32_e32 v3, v8, v3, vcc
	v_and_b32_e32 v8, 7, v3
	v_cmp_lt_i32_e32 vcc, 5, v8
	v_cmp_eq_u32_e64 s[0:1], 3, v8
	v_lshrrev_b32_e32 v8, 2, v3
	v_cvt_f64_f32_e32 v[2:3], v2
	s_or_b64 vcc, s[0:1], vcc
	v_addc_co_u32_e32 v8, vcc, 0, v8, vcc
	v_mul_f64 v[2:3], v[2:3], s[2:3]
	v_cmp_gt_i32_e32 vcc, 31, v7
	v_cndmask_b32_e32 v8, v13, v8, vcc
	v_cmp_ne_u32_e32 vcc, 0, v5
	v_cndmask_b32_e64 v5, 0, 1, vcc
	v_lshl_or_b32 v5, v5, 9, v13
	v_cmp_eq_u32_e32 vcc, s10, v7
	v_cndmask_b32_e32 v5, v8, v5, vcc
	v_and_or_b32 v2, v3, s6, v2
	v_lshrrev_b32_e32 v7, 16, v11
	v_cmp_ne_u32_e32 vcc, 0, v2
	v_and_or_b32 v5, v7, s11, v5
	v_cndmask_b32_e64 v2, 0, 1, vcc
	v_lshrrev_b32_e32 v7, 8, v3
	v_bfe_u32 v8, v3, 20, 11
	v_and_or_b32 v2, v7, s7, v2
	v_sub_u32_e32 v10, 0x3f1, v8
	v_or_b32_e32 v7, 0x1000, v2
	v_med3_i32 v10, v10, 0, 13
	v_lshrrev_b32_e32 v11, v10, v7
	v_lshlrev_b32_e32 v10, v10, v11
	v_cmp_ne_u32_e32 vcc, v10, v7
	v_cndmask_b32_e64 v7, 0, 1, vcc
	v_add_u32_e32 v10, 0xfffffc10, v8
	v_or_b32_e32 v7, v11, v7
	v_lshl_or_b32 v8, v10, 12, v2
	v_cmp_gt_i32_e32 vcc, 1, v10
	v_cndmask_b32_e32 v7, v8, v7, vcc
	v_and_b32_e32 v8, 7, v7
	v_cmp_lt_i32_e32 vcc, 5, v8
	v_cmp_eq_u32_e64 s[0:1], 3, v8
	v_lshrrev_b32_e32 v7, 2, v7
	s_or_b64 vcc, s[0:1], vcc
	v_addc_co_u32_e32 v11, vcc, 0, v7, vcc
	ds_read2_b32 v[7:8], v14 offset0:84 offset1:101
	v_cmp_gt_i32_e32 vcc, 31, v10
	v_cndmask_b32_e32 v11, v13, v11, vcc
	v_cmp_ne_u32_e32 vcc, 0, v2
	v_cndmask_b32_e64 v2, 0, 1, vcc
	s_waitcnt lgkmcnt(0)
	v_lshrrev_b32_e32 v12, 16, v7
	v_mul_f16_sdwa v20, v159, v12 dst_sel:DWORD dst_unused:UNUSED_PAD src0_sel:WORD_1 src1_sel:DWORD
	v_fma_f16 v20, v159, v7, v20
	v_cvt_f32_f16_e32 v20, v20
	v_lshl_or_b32 v2, v2, 9, v13
	v_cmp_eq_u32_e32 vcc, s10, v10
	v_cndmask_b32_e32 v2, v11, v2, vcc
	v_cvt_f64_f32_e32 v[10:11], v20
	v_lshrrev_b32_e32 v3, 16, v3
	v_and_or_b32 v20, v3, s11, v2
	v_and_b32_e32 v5, 0xffff, v5
	v_mul_f64 v[2:3], v[10:11], s[2:3]
	v_mov_b32_e32 v11, s4
	v_add_co_u32_e32 v10, vcc, s5, v18
	v_addc_co_u32_e32 v11, vcc, v19, v11, vcc
	v_lshl_or_b32 v5, v20, 16, v5
	global_store_dword v[10:11], v5, off
	v_and_or_b32 v2, v3, s6, v2
	v_cmp_ne_u32_e32 vcc, 0, v2
	v_cndmask_b32_e64 v2, 0, 1, vcc
	v_lshrrev_b32_e32 v5, 8, v3
	v_bfe_u32 v18, v3, 20, 11
	v_and_or_b32 v2, v5, s7, v2
	v_sub_u32_e32 v19, 0x3f1, v18
	v_or_b32_e32 v5, 0x1000, v2
	v_med3_i32 v19, v19, 0, 13
	v_lshrrev_b32_e32 v20, v19, v5
	v_lshlrev_b32_e32 v19, v19, v20
	v_cmp_ne_u32_e32 vcc, v19, v5
	v_mul_f16_sdwa v7, v159, v7 dst_sel:DWORD dst_unused:UNUSED_PAD src0_sel:WORD_1 src1_sel:DWORD
	v_cndmask_b32_e64 v5, 0, 1, vcc
	v_fma_f16 v7, v159, v12, -v7
	v_or_b32_e32 v5, v20, v5
	v_add_u32_e32 v20, 0xfffffc10, v18
	v_cvt_f32_f16_e32 v7, v7
	v_lshl_or_b32 v18, v20, 12, v2
	v_cmp_gt_i32_e32 vcc, 1, v20
	v_cndmask_b32_e32 v5, v18, v5, vcc
	v_and_b32_e32 v18, 7, v5
	v_cmp_lt_i32_e32 vcc, 5, v18
	v_cmp_eq_u32_e64 s[0:1], 3, v18
	v_cvt_f64_f32_e32 v[18:19], v7
	v_lshrrev_b32_e32 v5, 2, v5
	s_or_b64 vcc, s[0:1], vcc
	v_addc_co_u32_e32 v5, vcc, 0, v5, vcc
	v_mul_f64 v[18:19], v[18:19], s[2:3]
	v_cmp_gt_i32_e32 vcc, 31, v20
	v_cndmask_b32_e32 v5, v13, v5, vcc
	v_cmp_ne_u32_e32 vcc, 0, v2
	v_cndmask_b32_e64 v2, 0, 1, vcc
	v_lshl_or_b32 v2, v2, 9, v13
	v_cmp_eq_u32_e32 vcc, s10, v20
	v_cndmask_b32_e32 v2, v5, v2, vcc
	v_lshrrev_b32_e32 v3, 16, v3
	v_and_or_b32 v5, v3, s11, v2
	v_and_or_b32 v2, v19, s6, v18
	v_cmp_ne_u32_e32 vcc, 0, v2
	v_cndmask_b32_e64 v2, 0, 1, vcc
	v_lshrrev_b32_e32 v3, 8, v19
	v_and_or_b32 v7, v3, s7, v2
	v_bfe_u32 v3, v19, 20, 11
	v_sub_u32_e32 v12, 0x3f1, v3
	v_or_b32_e32 v2, 0x1000, v7
	v_med3_i32 v12, v12, 0, 13
	v_lshrrev_b32_e32 v18, v12, v2
	v_lshlrev_b32_e32 v12, v12, v18
	v_cmp_ne_u32_e32 vcc, v12, v2
	v_cndmask_b32_e64 v2, 0, 1, vcc
	v_add_u32_e32 v12, 0xfffffc10, v3
	v_or_b32_e32 v2, v18, v2
	v_lshl_or_b32 v3, v12, 12, v7
	v_cmp_gt_i32_e32 vcc, 1, v12
	v_cndmask_b32_e32 v2, v3, v2, vcc
	v_and_b32_e32 v3, 7, v2
	v_cmp_lt_i32_e32 vcc, 5, v3
	v_cmp_eq_u32_e64 s[0:1], 3, v3
	v_lshrrev_b32_e32 v2, 2, v2
	s_or_b64 vcc, s[0:1], vcc
	v_addc_co_u32_e32 v18, vcc, 0, v2, vcc
	ds_read2_b32 v[2:3], v14 offset0:152 offset1:169
	v_cmp_gt_i32_e32 vcc, 31, v12
	v_cndmask_b32_e32 v18, v13, v18, vcc
	v_cmp_ne_u32_e32 vcc, 0, v7
	v_cndmask_b32_e64 v7, 0, 1, vcc
	s_waitcnt lgkmcnt(0)
	v_lshrrev_b32_e32 v22, 16, v3
	v_mul_f16_sdwa v20, v158, v22 dst_sel:DWORD dst_unused:UNUSED_PAD src0_sel:WORD_1 src1_sel:DWORD
	v_fma_f16 v20, v158, v3, v20
	v_cvt_f32_f16_e32 v20, v20
	v_lshl_or_b32 v7, v7, 9, v13
	v_cmp_eq_u32_e32 vcc, s10, v12
	v_cndmask_b32_e32 v7, v18, v7, vcc
	v_cvt_f64_f32_e32 v[20:21], v20
	v_lshrrev_b32_e32 v12, 16, v19
	v_and_or_b32 v7, v12, s11, v7
	v_and_b32_e32 v5, 0xffff, v5
	v_mul_f64 v[18:19], v[20:21], s[2:3]
	v_lshl_or_b32 v5, v7, 16, v5
	v_mov_b32_e32 v7, s4
	v_add_co_u32_e32 v20, vcc, s5, v10
	v_addc_co_u32_e32 v21, vcc, v11, v7, vcc
	global_store_dword v[20:21], v5, off
	v_and_or_b32 v5, v19, s6, v18
	v_cmp_ne_u32_e32 vcc, 0, v5
	v_cndmask_b32_e64 v5, 0, 1, vcc
	v_lshrrev_b32_e32 v7, 8, v19
	v_bfe_u32 v10, v19, 20, 11
	v_and_or_b32 v5, v7, s7, v5
	v_sub_u32_e32 v11, 0x3f1, v10
	v_or_b32_e32 v7, 0x1000, v5
	v_med3_i32 v11, v11, 0, 13
	v_lshrrev_b32_e32 v12, v11, v7
	v_lshlrev_b32_e32 v11, v11, v12
	v_cmp_ne_u32_e32 vcc, v11, v7
	v_mul_f16_sdwa v3, v158, v3 dst_sel:DWORD dst_unused:UNUSED_PAD src0_sel:WORD_1 src1_sel:DWORD
	v_cndmask_b32_e64 v7, 0, 1, vcc
	v_fma_f16 v3, v158, v22, -v3
	v_or_b32_e32 v7, v12, v7
	v_add_u32_e32 v12, 0xfffffc10, v10
	v_cvt_f32_f16_e32 v3, v3
	v_lshl_or_b32 v10, v12, 12, v5
	v_cmp_gt_i32_e32 vcc, 1, v12
	v_cndmask_b32_e32 v7, v10, v7, vcc
	v_and_b32_e32 v10, 7, v7
	v_cmp_lt_i32_e32 vcc, 5, v10
	v_cmp_eq_u32_e64 s[0:1], 3, v10
	v_cvt_f64_f32_e32 v[10:11], v3
	v_lshrrev_b32_e32 v7, 2, v7
	s_or_b64 vcc, s[0:1], vcc
	v_addc_co_u32_e32 v3, vcc, 0, v7, vcc
	v_mul_f64 v[10:11], v[10:11], s[2:3]
	v_cmp_gt_i32_e32 vcc, 31, v12
	v_cndmask_b32_e32 v3, v13, v3, vcc
	v_cmp_ne_u32_e32 vcc, 0, v5
	v_cndmask_b32_e64 v5, 0, 1, vcc
	v_lshl_or_b32 v5, v5, 9, v13
	v_cmp_eq_u32_e32 vcc, s10, v12
	v_cndmask_b32_e32 v3, v3, v5, vcc
	v_lshrrev_b32_e32 v5, 16, v19
	v_and_or_b32 v3, v5, s11, v3
	v_and_or_b32 v5, v11, s6, v10
	v_cmp_ne_u32_e32 vcc, 0, v5
	v_cndmask_b32_e64 v5, 0, 1, vcc
	v_lshrrev_b32_e32 v7, 8, v11
	v_bfe_u32 v10, v11, 20, 11
	v_and_or_b32 v5, v7, s7, v5
	v_sub_u32_e32 v12, 0x3f1, v10
	v_or_b32_e32 v7, 0x1000, v5
	v_med3_i32 v12, v12, 0, 13
	v_lshrrev_b32_e32 v18, v12, v7
	v_lshlrev_b32_e32 v12, v12, v18
	v_cmp_ne_u32_e32 vcc, v12, v7
	v_cndmask_b32_e64 v7, 0, 1, vcc
	v_add_u32_e32 v12, 0xfffffc10, v10
	v_or_b32_e32 v7, v18, v7
	v_lshl_or_b32 v10, v12, 12, v5
	v_cmp_gt_i32_e32 vcc, 1, v12
	v_cndmask_b32_e32 v7, v10, v7, vcc
	v_and_b32_e32 v10, 7, v7
	v_cmp_lt_i32_e32 vcc, 5, v10
	v_cmp_eq_u32_e64 s[0:1], 3, v10
	ds_read2_b32 v[9:10], v9 offset0:126 offset1:143
	v_lshrrev_b32_e32 v7, 2, v7
	s_or_b64 vcc, s[0:1], vcc
	v_addc_co_u32_e32 v7, vcc, 0, v7, vcc
	s_waitcnt lgkmcnt(0)
	v_lshrrev_b32_e32 v22, 16, v9
	v_mul_f16_sdwa v18, v155, v22 dst_sel:DWORD dst_unused:UNUSED_PAD src0_sel:WORD_1 src1_sel:DWORD
	v_fma_f16 v18, v155, v9, v18
	v_cvt_f32_f16_e32 v18, v18
	v_cmp_gt_i32_e32 vcc, 31, v12
	v_cndmask_b32_e32 v7, v13, v7, vcc
	v_cmp_ne_u32_e32 vcc, 0, v5
	v_cvt_f64_f32_e32 v[18:19], v18
	v_cndmask_b32_e64 v5, 0, 1, vcc
	v_lshl_or_b32 v5, v5, 9, v13
	v_cmp_eq_u32_e32 vcc, s10, v12
	v_cndmask_b32_e32 v5, v7, v5, vcc
	v_lshrrev_b32_e32 v7, 16, v11
	v_mul_f64 v[11:12], v[18:19], s[2:3]
	v_and_or_b32 v5, v7, s11, v5
	v_and_b32_e32 v3, 0xffff, v3
	v_lshl_or_b32 v3, v5, 16, v3
	v_mov_b32_e32 v5, s4
	v_add_co_u32_e32 v18, vcc, s5, v20
	v_addc_co_u32_e32 v19, vcc, v21, v5, vcc
	global_store_dword v[18:19], v3, off
	v_and_or_b32 v3, v12, s6, v11
	v_cmp_ne_u32_e32 vcc, 0, v3
	v_cndmask_b32_e64 v3, 0, 1, vcc
	v_lshrrev_b32_e32 v5, 8, v12
	v_bfe_u32 v7, v12, 20, 11
	v_and_or_b32 v3, v5, s7, v3
	v_sub_u32_e32 v11, 0x3f1, v7
	v_mul_f16_sdwa v9, v155, v9 dst_sel:DWORD dst_unused:UNUSED_PAD src0_sel:WORD_1 src1_sel:DWORD
	v_or_b32_e32 v5, 0x1000, v3
	v_med3_i32 v11, v11, 0, 13
	v_fma_f16 v9, v155, v22, -v9
	v_lshrrev_b32_e32 v20, v11, v5
	v_cvt_f32_f16_e32 v9, v9
	v_lshlrev_b32_e32 v11, v11, v20
	v_cmp_ne_u32_e32 vcc, v11, v5
	v_cndmask_b32_e64 v5, 0, 1, vcc
	v_or_b32_e32 v5, v20, v5
	v_add_u32_e32 v7, 0xfffffc10, v7
	v_cvt_f64_f32_e32 v[20:21], v9
	v_lshl_or_b32 v11, v7, 12, v3
	v_cmp_gt_i32_e32 vcc, 1, v7
	v_cndmask_b32_e32 v5, v11, v5, vcc
	v_and_b32_e32 v11, 7, v5
	v_cmp_lt_i32_e32 vcc, 5, v11
	v_cmp_eq_u32_e64 s[0:1], 3, v11
	v_mul_f64 v[20:21], v[20:21], s[2:3]
	v_lshrrev_b32_e32 v5, 2, v5
	s_or_b64 vcc, s[0:1], vcc
	v_addc_co_u32_e32 v5, vcc, 0, v5, vcc
	v_cmp_gt_i32_e32 vcc, 31, v7
	v_cndmask_b32_e32 v5, v13, v5, vcc
	v_cmp_ne_u32_e32 vcc, 0, v3
	v_cndmask_b32_e64 v3, 0, 1, vcc
	v_lshl_or_b32 v3, v3, 9, v13
	v_cmp_eq_u32_e32 vcc, s10, v7
	v_cndmask_b32_e32 v3, v5, v3, vcc
	v_lshrrev_b32_e32 v5, 16, v12
	v_and_or_b32 v3, v5, s11, v3
	v_and_or_b32 v5, v21, s6, v20
	v_cmp_ne_u32_e32 vcc, 0, v5
	v_cndmask_b32_e64 v5, 0, 1, vcc
	v_lshrrev_b32_e32 v7, 8, v21
	v_bfe_u32 v9, v21, 20, 11
	v_and_or_b32 v5, v7, s7, v5
	v_sub_u32_e32 v11, 0x3f1, v9
	v_or_b32_e32 v7, 0x1000, v5
	v_med3_i32 v11, v11, 0, 13
	v_lshrrev_b32_e32 v12, v11, v7
	v_lshlrev_b32_e32 v11, v11, v12
	v_cmp_ne_u32_e32 vcc, v11, v7
	v_cndmask_b32_e64 v7, 0, 1, vcc
	v_add_u32_e32 v9, 0xfffffc10, v9
	v_or_b32_e32 v7, v12, v7
	v_lshl_or_b32 v11, v9, 12, v5
	v_cmp_gt_i32_e32 vcc, 1, v9
	v_cndmask_b32_e32 v7, v11, v7, vcc
	v_and_b32_e32 v11, 7, v7
	v_lshrrev_b32_e32 v20, 16, v4
	v_cmp_lt_i32_e32 vcc, 5, v11
	v_cmp_eq_u32_e64 s[0:1], 3, v11
	v_mul_f16_sdwa v11, v157, v20 dst_sel:DWORD dst_unused:UNUSED_PAD src0_sel:WORD_1 src1_sel:DWORD
	v_fma_f16 v11, v157, v4, v11
	v_cvt_f32_f16_e32 v11, v11
	v_lshrrev_b32_e32 v7, 2, v7
	s_or_b64 vcc, s[0:1], vcc
	v_addc_co_u32_e32 v7, vcc, 0, v7, vcc
	v_cvt_f64_f32_e32 v[11:12], v11
	v_cmp_gt_i32_e32 vcc, 31, v9
	v_cndmask_b32_e32 v7, v13, v7, vcc
	v_cmp_ne_u32_e32 vcc, 0, v5
	v_mul_f64 v[11:12], v[11:12], s[2:3]
	v_cndmask_b32_e64 v5, 0, 1, vcc
	v_lshl_or_b32 v5, v5, 9, v13
	v_cmp_eq_u32_e32 vcc, s10, v9
	v_cndmask_b32_e32 v5, v7, v5, vcc
	v_lshrrev_b32_e32 v7, 16, v21
	v_and_or_b32 v5, v7, s11, v5
	v_and_b32_e32 v3, 0xffff, v3
	v_lshl_or_b32 v3, v5, 16, v3
	v_mov_b32_e32 v5, s4
	v_add_co_u32_e32 v18, vcc, s5, v18
	v_addc_co_u32_e32 v19, vcc, v19, v5, vcc
	global_store_dword v[18:19], v3, off
	v_and_or_b32 v3, v12, s6, v11
	v_cmp_ne_u32_e32 vcc, 0, v3
	v_cndmask_b32_e64 v3, 0, 1, vcc
	v_lshrrev_b32_e32 v5, 8, v12
	v_and_or_b32 v7, v5, s7, v3
	v_bfe_u32 v5, v12, 20, 11
	v_sub_u32_e32 v9, 0x3f1, v5
	v_or_b32_e32 v3, 0x1000, v7
	v_med3_i32 v9, v9, 0, 13
	v_lshrrev_b32_e32 v11, v9, v3
	v_lshlrev_b32_e32 v9, v9, v11
	v_mul_f16_sdwa v4, v157, v4 dst_sel:DWORD dst_unused:UNUSED_PAD src0_sel:WORD_1 src1_sel:DWORD
	v_cmp_ne_u32_e32 vcc, v9, v3
	v_fma_f16 v4, v157, v20, -v4
	v_cndmask_b32_e64 v3, 0, 1, vcc
	v_add_u32_e32 v9, 0xfffffc10, v5
	v_cvt_f32_f16_e32 v4, v4
	v_or_b32_e32 v3, v11, v3
	v_lshl_or_b32 v5, v9, 12, v7
	v_cmp_gt_i32_e32 vcc, 1, v9
	v_cndmask_b32_e32 v3, v5, v3, vcc
	v_and_b32_e32 v5, 7, v3
	v_cmp_lt_i32_e32 vcc, 5, v5
	v_cmp_eq_u32_e64 s[0:1], 3, v5
	v_lshrrev_b32_e32 v5, 2, v3
	v_cvt_f64_f32_e32 v[3:4], v4
	s_or_b64 vcc, s[0:1], vcc
	v_addc_co_u32_e32 v5, vcc, 0, v5, vcc
	v_cmp_gt_i32_e32 vcc, 31, v9
	v_cndmask_b32_e32 v11, v13, v5, vcc
	v_mul_f64 v[4:5], v[3:4], s[2:3]
	v_cmp_ne_u32_e32 vcc, 0, v7
	v_cndmask_b32_e64 v3, 0, 1, vcc
	v_lshl_or_b32 v3, v3, 9, v13
	v_cmp_eq_u32_e32 vcc, s10, v9
	v_cndmask_b32_e32 v3, v11, v3, vcc
	v_lshrrev_b32_e32 v7, 16, v12
	v_and_or_b32 v7, v7, s11, v3
	v_and_or_b32 v3, v5, s6, v4
	v_cmp_ne_u32_e32 vcc, 0, v3
	v_cndmask_b32_e64 v3, 0, 1, vcc
	v_lshrrev_b32_e32 v4, 8, v5
	v_bfe_u32 v9, v5, 20, 11
	v_and_or_b32 v3, v4, s7, v3
	v_sub_u32_e32 v11, 0x3f1, v9
	v_or_b32_e32 v4, 0x1000, v3
	v_med3_i32 v11, v11, 0, 13
	v_lshrrev_b32_e32 v12, v11, v4
	v_lshlrev_b32_e32 v11, v11, v12
	v_cmp_ne_u32_e32 vcc, v11, v4
	v_cndmask_b32_e64 v4, 0, 1, vcc
	v_add_u32_e32 v9, 0xfffffc10, v9
	v_or_b32_e32 v4, v12, v4
	v_lshl_or_b32 v11, v9, 12, v3
	v_cmp_gt_i32_e32 vcc, 1, v9
	v_cndmask_b32_e32 v4, v11, v4, vcc
	v_and_b32_e32 v11, 7, v4
	v_cmp_lt_i32_e32 vcc, 5, v11
	v_cmp_eq_u32_e64 s[0:1], 3, v11
	v_lshrrev_b32_e32 v4, 2, v4
	s_or_b64 vcc, s[0:1], vcc
	v_addc_co_u32_e32 v4, vcc, 0, v4, vcc
	v_cmp_gt_i32_e32 vcc, 31, v9
	v_cndmask_b32_e32 v11, v13, v4, vcc
	v_cmp_ne_u32_e32 vcc, 0, v3
	v_cndmask_b32_e64 v3, 0, 1, vcc
	v_lshl_or_b32 v12, v3, 9, v13
	ds_read2_b32 v[3:4], v127 offset0:102 offset1:119
	v_cmp_eq_u32_e32 vcc, s10, v9
	v_cndmask_b32_e32 v9, v11, v12, vcc
	v_lshrrev_b32_e32 v5, 16, v5
	v_and_or_b32 v5, v5, s11, v9
	s_waitcnt lgkmcnt(0)
	v_lshrrev_b32_e32 v9, 16, v3
	v_mul_f16_sdwa v11, v152, v9 dst_sel:DWORD dst_unused:UNUSED_PAD src0_sel:WORD_1 src1_sel:DWORD
	v_fma_f16 v11, v152, v3, v11
	v_cvt_f32_f16_e32 v11, v11
	s_mul_hi_u32 s1, s8, 0xfffff84c
	s_mul_i32 s0, s9, 0xfffff84c
	s_sub_i32 s12, s1, s8
	v_cvt_f64_f32_e32 v[11:12], v11
	v_and_b32_e32 v7, 0xffff, v7
	s_add_i32 s12, s12, s0
	v_lshl_or_b32 v5, v5, 16, v7
	v_mul_f64 v[11:12], v[11:12], s[2:3]
	v_mov_b32_e32 v7, s12
	v_add_co_u32_e32 v18, vcc, s13, v18
	v_addc_co_u32_e32 v19, vcc, v19, v7, vcc
	global_store_dword v[18:19], v5, off
	v_mul_f16_sdwa v3, v152, v3 dst_sel:DWORD dst_unused:UNUSED_PAD src0_sel:WORD_1 src1_sel:DWORD
	v_and_or_b32 v5, v12, s6, v11
	v_cmp_ne_u32_e32 vcc, 0, v5
	v_cndmask_b32_e64 v5, 0, 1, vcc
	v_lshrrev_b32_e32 v7, 8, v12
	v_bfe_u32 v11, v12, 20, 11
	v_and_or_b32 v5, v7, s7, v5
	v_sub_u32_e32 v20, 0x3f1, v11
	v_or_b32_e32 v7, 0x1000, v5
	v_med3_i32 v20, v20, 0, 13
	v_lshrrev_b32_e32 v21, v20, v7
	v_lshlrev_b32_e32 v20, v20, v21
	v_cmp_ne_u32_e32 vcc, v20, v7
	v_fma_f16 v3, v152, v9, -v3
	v_cndmask_b32_e64 v7, 0, 1, vcc
	v_add_u32_e32 v11, 0xfffffc10, v11
	v_cvt_f32_f16_e32 v3, v3
	v_or_b32_e32 v7, v21, v7
	v_lshl_or_b32 v20, v11, 12, v5
	v_cmp_gt_i32_e32 vcc, 1, v11
	v_cndmask_b32_e32 v7, v20, v7, vcc
	v_and_b32_e32 v20, 7, v7
	v_cmp_lt_i32_e32 vcc, 5, v20
	v_cmp_eq_u32_e64 s[0:1], 3, v20
	v_cvt_f64_f32_e32 v[20:21], v3
	v_lshrrev_b32_e32 v7, 2, v7
	s_or_b64 vcc, s[0:1], vcc
	v_addc_co_u32_e32 v3, vcc, 0, v7, vcc
	v_mul_f64 v[20:21], v[20:21], s[2:3]
	v_cmp_gt_i32_e32 vcc, 31, v11
	v_cndmask_b32_e32 v3, v13, v3, vcc
	v_cmp_ne_u32_e32 vcc, 0, v5
	v_cndmask_b32_e64 v5, 0, 1, vcc
	v_lshl_or_b32 v5, v5, 9, v13
	v_cmp_eq_u32_e32 vcc, s10, v11
	v_cndmask_b32_e32 v3, v3, v5, vcc
	v_lshrrev_b32_e32 v5, 16, v12
	v_and_or_b32 v3, v5, s11, v3
	v_and_or_b32 v5, v21, s6, v20
	v_cmp_ne_u32_e32 vcc, 0, v5
	v_cndmask_b32_e64 v5, 0, 1, vcc
	v_lshrrev_b32_e32 v7, 8, v21
	v_bfe_u32 v9, v21, 20, 11
	v_and_or_b32 v5, v7, s7, v5
	v_sub_u32_e32 v11, 0x3f1, v9
	v_or_b32_e32 v7, 0x1000, v5
	v_med3_i32 v11, v11, 0, 13
	v_lshrrev_b32_e32 v12, v11, v7
	v_lshlrev_b32_e32 v11, v11, v12
	v_cmp_ne_u32_e32 vcc, v11, v7
	v_cndmask_b32_e64 v7, 0, 1, vcc
	v_add_u32_e32 v9, 0xfffffc10, v9
	v_or_b32_e32 v7, v12, v7
	v_lshl_or_b32 v11, v9, 12, v5
	v_cmp_gt_i32_e32 vcc, 1, v9
	v_cndmask_b32_e32 v7, v11, v7, vcc
	v_and_b32_e32 v11, 7, v7
	v_lshrrev_b32_e32 v20, 16, v6
	v_cmp_lt_i32_e32 vcc, 5, v11
	v_cmp_eq_u32_e64 s[0:1], 3, v11
	v_mul_f16_sdwa v11, v156, v20 dst_sel:DWORD dst_unused:UNUSED_PAD src0_sel:WORD_1 src1_sel:DWORD
	v_fma_f16 v11, v156, v6, v11
	v_cvt_f32_f16_e32 v11, v11
	v_lshrrev_b32_e32 v7, 2, v7
	s_or_b64 vcc, s[0:1], vcc
	v_addc_co_u32_e32 v7, vcc, 0, v7, vcc
	v_cvt_f64_f32_e32 v[11:12], v11
	v_cmp_gt_i32_e32 vcc, 31, v9
	v_cndmask_b32_e32 v7, v13, v7, vcc
	v_cmp_ne_u32_e32 vcc, 0, v5
	v_mul_f64 v[11:12], v[11:12], s[2:3]
	v_cndmask_b32_e64 v5, 0, 1, vcc
	v_lshl_or_b32 v5, v5, 9, v13
	v_cmp_eq_u32_e32 vcc, s10, v9
	v_cndmask_b32_e32 v5, v7, v5, vcc
	v_lshrrev_b32_e32 v7, 16, v21
	v_and_or_b32 v5, v7, s11, v5
	v_and_b32_e32 v3, 0xffff, v3
	v_lshl_or_b32 v3, v5, 16, v3
	v_mov_b32_e32 v5, s4
	v_add_co_u32_e32 v18, vcc, s5, v18
	v_addc_co_u32_e32 v19, vcc, v19, v5, vcc
	global_store_dword v[18:19], v3, off
	v_and_or_b32 v3, v12, s6, v11
	v_cmp_ne_u32_e32 vcc, 0, v3
	v_cndmask_b32_e64 v3, 0, 1, vcc
	v_lshrrev_b32_e32 v5, 8, v12
	v_bfe_u32 v7, v12, 20, 11
	v_and_or_b32 v3, v5, s7, v3
	v_sub_u32_e32 v9, 0x3f1, v7
	v_or_b32_e32 v5, 0x1000, v3
	v_med3_i32 v9, v9, 0, 13
	v_lshrrev_b32_e32 v11, v9, v5
	v_lshlrev_b32_e32 v9, v9, v11
	v_mul_f16_sdwa v6, v156, v6 dst_sel:DWORD dst_unused:UNUSED_PAD src0_sel:WORD_1 src1_sel:DWORD
	v_cmp_ne_u32_e32 vcc, v9, v5
	v_fma_f16 v6, v156, v20, -v6
	v_cndmask_b32_e64 v5, 0, 1, vcc
	v_add_u32_e32 v9, 0xfffffc10, v7
	v_cvt_f32_f16_e32 v6, v6
	v_or_b32_e32 v5, v11, v5
	v_lshl_or_b32 v7, v9, 12, v3
	v_cmp_gt_i32_e32 vcc, 1, v9
	v_cndmask_b32_e32 v5, v7, v5, vcc
	v_and_b32_e32 v7, 7, v5
	v_cmp_lt_i32_e32 vcc, 5, v7
	v_cmp_eq_u32_e64 s[0:1], 3, v7
	v_lshrrev_b32_e32 v7, 2, v5
	v_cvt_f64_f32_e32 v[5:6], v6
	s_or_b64 vcc, s[0:1], vcc
	v_addc_co_u32_e32 v7, vcc, 0, v7, vcc
	v_cmp_gt_i32_e32 vcc, 31, v9
	v_cndmask_b32_e32 v11, v13, v7, vcc
	v_mul_f64 v[6:7], v[5:6], s[2:3]
	v_cmp_ne_u32_e32 vcc, 0, v3
	v_cndmask_b32_e64 v3, 0, 1, vcc
	v_lshl_or_b32 v3, v3, 9, v13
	v_cmp_eq_u32_e32 vcc, s10, v9
	v_cndmask_b32_e32 v3, v11, v3, vcc
	v_lshrrev_b32_e32 v5, 16, v12
	v_and_or_b32 v3, v5, s11, v3
	v_and_or_b32 v5, v7, s6, v6
	v_cmp_ne_u32_e32 vcc, 0, v5
	v_cndmask_b32_e64 v5, 0, 1, vcc
	v_lshrrev_b32_e32 v6, 8, v7
	v_and_or_b32 v9, v6, s7, v5
	v_bfe_u32 v6, v7, 20, 11
	v_sub_u32_e32 v11, 0x3f1, v6
	v_or_b32_e32 v5, 0x1000, v9
	v_med3_i32 v11, v11, 0, 13
	v_lshrrev_b32_e32 v12, v11, v5
	v_lshlrev_b32_e32 v11, v11, v12
	v_cmp_ne_u32_e32 vcc, v11, v5
	v_cndmask_b32_e64 v5, 0, 1, vcc
	v_add_u32_e32 v11, 0xfffffc10, v6
	v_or_b32_e32 v5, v12, v5
	v_lshl_or_b32 v6, v11, 12, v9
	v_cmp_gt_i32_e32 vcc, 1, v11
	v_cndmask_b32_e32 v5, v6, v5, vcc
	v_and_b32_e32 v6, 7, v5
	v_cmp_lt_i32_e32 vcc, 5, v6
	v_cmp_eq_u32_e64 s[0:1], 3, v6
	v_lshrrev_b32_e32 v5, 2, v5
	s_or_b64 vcc, s[0:1], vcc
	v_addc_co_u32_e32 v12, vcc, 0, v5, vcc
	ds_read2_b32 v[5:6], v14 offset0:16 offset1:33
	v_cmp_gt_i32_e32 vcc, 31, v11
	v_cndmask_b32_e32 v12, v13, v12, vcc
	v_cmp_ne_u32_e32 vcc, 0, v9
	v_cndmask_b32_e64 v9, 0, 1, vcc
	s_waitcnt lgkmcnt(0)
	v_lshrrev_b32_e32 v20, 16, v5
	v_mul_f16_sdwa v21, v154, v20 dst_sel:DWORD dst_unused:UNUSED_PAD src0_sel:WORD_1 src1_sel:DWORD
	v_fma_f16 v21, v154, v5, v21
	v_cvt_f32_f16_e32 v21, v21
	v_lshl_or_b32 v9, v9, 9, v13
	v_cmp_eq_u32_e32 vcc, s10, v11
	v_cndmask_b32_e32 v9, v12, v9, vcc
	v_cvt_f64_f32_e32 v[11:12], v21
	v_lshrrev_b32_e32 v7, 16, v7
	v_and_or_b32 v7, v7, s11, v9
	v_and_b32_e32 v3, 0xffff, v3
	v_mul_f64 v[11:12], v[11:12], s[2:3]
	v_lshl_or_b32 v3, v7, 16, v3
	v_mov_b32_e32 v7, s4
	v_add_co_u32_e32 v18, vcc, s5, v18
	v_addc_co_u32_e32 v19, vcc, v19, v7, vcc
	global_store_dword v[18:19], v3, off
	v_and_or_b32 v3, v12, s6, v11
	v_cmp_ne_u32_e32 vcc, 0, v3
	v_cndmask_b32_e64 v3, 0, 1, vcc
	v_lshrrev_b32_e32 v7, 8, v12
	v_bfe_u32 v9, v12, 20, 11
	v_and_or_b32 v3, v7, s7, v3
	v_sub_u32_e32 v11, 0x3f1, v9
	v_mul_f16_sdwa v5, v154, v5 dst_sel:DWORD dst_unused:UNUSED_PAD src0_sel:WORD_1 src1_sel:DWORD
	v_or_b32_e32 v7, 0x1000, v3
	v_med3_i32 v11, v11, 0, 13
	v_fma_f16 v5, v154, v20, -v5
	v_lshrrev_b32_e32 v21, v11, v7
	v_cvt_f32_f16_e32 v5, v5
	v_lshlrev_b32_e32 v11, v11, v21
	v_cmp_ne_u32_e32 vcc, v11, v7
	v_cndmask_b32_e64 v7, 0, 1, vcc
	v_or_b32_e32 v7, v21, v7
	v_add_u32_e32 v9, 0xfffffc10, v9
	v_cvt_f64_f32_e32 v[20:21], v5
	v_lshl_or_b32 v11, v9, 12, v3
	v_cmp_gt_i32_e32 vcc, 1, v9
	v_cndmask_b32_e32 v7, v11, v7, vcc
	v_and_b32_e32 v11, 7, v7
	v_cmp_lt_i32_e32 vcc, 5, v11
	v_cmp_eq_u32_e64 s[0:1], 3, v11
	v_mul_f64 v[20:21], v[20:21], s[2:3]
	v_lshrrev_b32_e32 v7, 2, v7
	s_or_b64 vcc, s[0:1], vcc
	v_addc_co_u32_e32 v5, vcc, 0, v7, vcc
	v_cmp_gt_i32_e32 vcc, 31, v9
	v_cndmask_b32_e32 v5, v13, v5, vcc
	v_cmp_ne_u32_e32 vcc, 0, v3
	v_cndmask_b32_e64 v3, 0, 1, vcc
	v_lshl_or_b32 v3, v3, 9, v13
	v_cmp_eq_u32_e32 vcc, s10, v9
	v_cndmask_b32_e32 v3, v5, v3, vcc
	v_lshrrev_b32_e32 v5, 16, v12
	v_and_or_b32 v3, v5, s11, v3
	v_and_or_b32 v5, v21, s6, v20
	v_cmp_ne_u32_e32 vcc, 0, v5
	v_cndmask_b32_e64 v5, 0, 1, vcc
	v_lshrrev_b32_e32 v7, 8, v21
	v_bfe_u32 v9, v21, 20, 11
	v_and_or_b32 v5, v7, s7, v5
	v_sub_u32_e32 v11, 0x3f1, v9
	v_or_b32_e32 v7, 0x1000, v5
	v_med3_i32 v11, v11, 0, 13
	v_lshrrev_b32_e32 v12, v11, v7
	v_lshlrev_b32_e32 v11, v11, v12
	v_cmp_ne_u32_e32 vcc, v11, v7
	v_cndmask_b32_e64 v7, 0, 1, vcc
	v_add_u32_e32 v9, 0xfffffc10, v9
	v_or_b32_e32 v7, v12, v7
	v_lshl_or_b32 v11, v9, 12, v5
	v_cmp_gt_i32_e32 vcc, 1, v9
	v_cndmask_b32_e32 v7, v11, v7, vcc
	v_and_b32_e32 v11, 7, v7
	v_lshrrev_b32_e32 v20, 16, v8
	v_cmp_lt_i32_e32 vcc, 5, v11
	v_cmp_eq_u32_e64 s[0:1], 3, v11
	v_mul_f16_sdwa v11, v153, v20 dst_sel:DWORD dst_unused:UNUSED_PAD src0_sel:WORD_1 src1_sel:DWORD
	v_fma_f16 v11, v153, v8, v11
	v_cvt_f32_f16_e32 v11, v11
	v_lshrrev_b32_e32 v7, 2, v7
	s_or_b64 vcc, s[0:1], vcc
	v_addc_co_u32_e32 v7, vcc, 0, v7, vcc
	v_cvt_f64_f32_e32 v[11:12], v11
	v_cmp_gt_i32_e32 vcc, 31, v9
	v_cndmask_b32_e32 v7, v13, v7, vcc
	v_cmp_ne_u32_e32 vcc, 0, v5
	v_mul_f64 v[11:12], v[11:12], s[2:3]
	v_cndmask_b32_e64 v5, 0, 1, vcc
	v_lshl_or_b32 v5, v5, 9, v13
	v_cmp_eq_u32_e32 vcc, s10, v9
	v_cndmask_b32_e32 v5, v7, v5, vcc
	v_lshrrev_b32_e32 v7, 16, v21
	v_and_or_b32 v5, v7, s11, v5
	v_and_b32_e32 v3, 0xffff, v3
	v_lshl_or_b32 v3, v5, 16, v3
	v_mov_b32_e32 v5, s4
	v_add_co_u32_e32 v18, vcc, s5, v18
	v_addc_co_u32_e32 v19, vcc, v19, v5, vcc
	global_store_dword v[18:19], v3, off
	v_and_or_b32 v3, v12, s6, v11
	v_cmp_ne_u32_e32 vcc, 0, v3
	v_cndmask_b32_e64 v3, 0, 1, vcc
	v_lshrrev_b32_e32 v5, 8, v12
	v_bfe_u32 v7, v12, 20, 11
	v_and_or_b32 v3, v5, s7, v3
	v_sub_u32_e32 v9, 0x3f1, v7
	v_or_b32_e32 v5, 0x1000, v3
	v_med3_i32 v9, v9, 0, 13
	v_lshrrev_b32_e32 v11, v9, v5
	v_lshlrev_b32_e32 v9, v9, v11
	v_mul_f16_sdwa v8, v153, v8 dst_sel:DWORD dst_unused:UNUSED_PAD src0_sel:WORD_1 src1_sel:DWORD
	v_cmp_ne_u32_e32 vcc, v9, v5
	v_fma_f16 v8, v153, v20, -v8
	v_cndmask_b32_e64 v5, 0, 1, vcc
	v_add_u32_e32 v9, 0xfffffc10, v7
	v_cvt_f32_f16_e32 v8, v8
	v_or_b32_e32 v5, v11, v5
	v_lshl_or_b32 v7, v9, 12, v3
	v_cmp_gt_i32_e32 vcc, 1, v9
	v_cndmask_b32_e32 v5, v7, v5, vcc
	v_and_b32_e32 v7, 7, v5
	v_cmp_lt_i32_e32 vcc, 5, v7
	v_cmp_eq_u32_e64 s[0:1], 3, v7
	v_cvt_f64_f32_e32 v[7:8], v8
	v_lshrrev_b32_e32 v5, 2, v5
	s_or_b64 vcc, s[0:1], vcc
	v_addc_co_u32_e32 v5, vcc, 0, v5, vcc
	v_mul_f64 v[7:8], v[7:8], s[2:3]
	v_cmp_gt_i32_e32 vcc, 31, v9
	v_cndmask_b32_e32 v5, v13, v5, vcc
	v_cmp_ne_u32_e32 vcc, 0, v3
	v_cndmask_b32_e64 v3, 0, 1, vcc
	v_lshl_or_b32 v3, v3, 9, v13
	v_cmp_eq_u32_e32 vcc, s10, v9
	v_cndmask_b32_e32 v3, v5, v3, vcc
	v_lshrrev_b32_e32 v5, 16, v12
	v_and_or_b32 v3, v5, s11, v3
	v_and_or_b32 v5, v8, s6, v7
	v_cmp_ne_u32_e32 vcc, 0, v5
	v_cndmask_b32_e64 v5, 0, 1, vcc
	v_lshrrev_b32_e32 v7, 8, v8
	v_bfe_u32 v9, v8, 20, 11
	v_and_or_b32 v5, v7, s7, v5
	v_sub_u32_e32 v11, 0x3f1, v9
	v_or_b32_e32 v7, 0x1000, v5
	v_med3_i32 v11, v11, 0, 13
	v_lshrrev_b32_e32 v12, v11, v7
	v_lshlrev_b32_e32 v11, v11, v12
	v_cmp_ne_u32_e32 vcc, v11, v7
	v_cndmask_b32_e64 v7, 0, 1, vcc
	v_add_u32_e32 v9, 0xfffffc10, v9
	v_or_b32_e32 v7, v12, v7
	v_lshl_or_b32 v11, v9, 12, v5
	v_cmp_gt_i32_e32 vcc, 1, v9
	v_cndmask_b32_e32 v7, v11, v7, vcc
	v_and_b32_e32 v11, 7, v7
	v_cmp_lt_i32_e32 vcc, 5, v11
	v_cmp_eq_u32_e64 s[0:1], 3, v11
	ds_read2_b32 v[11:12], v14 offset0:186 offset1:203
	v_lshrrev_b32_e32 v7, 2, v7
	s_or_b64 vcc, s[0:1], vcc
	v_addc_co_u32_e32 v7, vcc, 0, v7, vcc
	s_waitcnt lgkmcnt(0)
	v_lshrrev_b32_e32 v22, 16, v11
	v_mul_f16_sdwa v20, v151, v22 dst_sel:DWORD dst_unused:UNUSED_PAD src0_sel:WORD_1 src1_sel:DWORD
	v_fma_f16 v20, v151, v11, v20
	v_cvt_f32_f16_e32 v20, v20
	v_cmp_gt_i32_e32 vcc, 31, v9
	v_cndmask_b32_e32 v7, v13, v7, vcc
	v_cmp_ne_u32_e32 vcc, 0, v5
	v_cvt_f64_f32_e32 v[20:21], v20
	v_cndmask_b32_e64 v5, 0, 1, vcc
	v_lshl_or_b32 v5, v5, 9, v13
	v_cmp_eq_u32_e32 vcc, s10, v9
	v_cndmask_b32_e32 v5, v7, v5, vcc
	v_lshrrev_b32_e32 v7, 16, v8
	v_and_or_b32 v5, v7, s11, v5
	v_mul_f64 v[7:8], v[20:21], s[2:3]
	v_and_b32_e32 v3, 0xffff, v3
	v_lshl_or_b32 v3, v5, 16, v3
	v_mov_b32_e32 v5, s4
	v_add_co_u32_e32 v18, vcc, s5, v18
	v_addc_co_u32_e32 v19, vcc, v19, v5, vcc
	global_store_dword v[18:19], v3, off
	v_and_or_b32 v3, v8, s6, v7
	v_cmp_ne_u32_e32 vcc, 0, v3
	v_cndmask_b32_e64 v3, 0, 1, vcc
	v_lshrrev_b32_e32 v5, 8, v8
	v_bfe_u32 v7, v8, 20, 11
	v_and_or_b32 v3, v5, s7, v3
	v_sub_u32_e32 v9, 0x3f1, v7
	v_mul_f16_sdwa v11, v151, v11 dst_sel:DWORD dst_unused:UNUSED_PAD src0_sel:WORD_1 src1_sel:DWORD
	v_or_b32_e32 v5, 0x1000, v3
	v_med3_i32 v9, v9, 0, 13
	v_fma_f16 v11, v151, v22, -v11
	v_lshrrev_b32_e32 v20, v9, v5
	v_cvt_f32_f16_e32 v11, v11
	v_lshlrev_b32_e32 v9, v9, v20
	v_cmp_ne_u32_e32 vcc, v9, v5
	v_cndmask_b32_e64 v5, 0, 1, vcc
	v_or_b32_e32 v5, v20, v5
	v_add_u32_e32 v7, 0xfffffc10, v7
	v_cvt_f64_f32_e32 v[20:21], v11
	v_lshl_or_b32 v9, v7, 12, v3
	v_cmp_gt_i32_e32 vcc, 1, v7
	v_cndmask_b32_e32 v5, v9, v5, vcc
	v_and_b32_e32 v9, 7, v5
	v_cmp_lt_i32_e32 vcc, 5, v9
	v_cmp_eq_u32_e64 s[0:1], 3, v9
	v_mul_f64 v[20:21], v[20:21], s[2:3]
	v_lshrrev_b32_e32 v5, 2, v5
	s_or_b64 vcc, s[0:1], vcc
	v_addc_co_u32_e32 v5, vcc, 0, v5, vcc
	v_cmp_gt_i32_e32 vcc, 31, v7
	v_cndmask_b32_e32 v5, v13, v5, vcc
	v_cmp_ne_u32_e32 vcc, 0, v3
	v_cndmask_b32_e64 v3, 0, 1, vcc
	v_lshl_or_b32 v3, v3, 9, v13
	v_cmp_eq_u32_e32 vcc, s10, v7
	v_cndmask_b32_e32 v3, v5, v3, vcc
	v_lshrrev_b32_e32 v5, 16, v8
	v_and_or_b32 v3, v5, s11, v3
	v_and_or_b32 v5, v21, s6, v20
	v_cmp_ne_u32_e32 vcc, 0, v5
	v_cndmask_b32_e64 v5, 0, 1, vcc
	v_lshrrev_b32_e32 v7, 8, v21
	v_bfe_u32 v8, v21, 20, 11
	v_and_or_b32 v5, v7, s7, v5
	v_sub_u32_e32 v9, 0x3f1, v8
	v_or_b32_e32 v7, 0x1000, v5
	v_med3_i32 v9, v9, 0, 13
	v_lshrrev_b32_e32 v11, v9, v7
	v_lshlrev_b32_e32 v9, v9, v11
	v_cmp_ne_u32_e32 vcc, v9, v7
	v_cndmask_b32_e64 v7, 0, 1, vcc
	v_add_u32_e32 v8, 0xfffffc10, v8
	v_or_b32_e32 v7, v11, v7
	v_lshl_or_b32 v9, v8, 12, v5
	v_cmp_gt_i32_e32 vcc, 1, v8
	v_cndmask_b32_e32 v7, v9, v7, vcc
	v_and_b32_e32 v9, 7, v7
	v_cmp_lt_i32_e32 vcc, 5, v9
	v_cmp_eq_u32_e64 s[0:1], 3, v9
	v_lshrrev_b32_e32 v9, 16, v10
	v_lshrrev_b32_e32 v7, 2, v7
	s_or_b64 vcc, s[0:1], vcc
	v_mul_f16_sdwa v11, v150, v9 dst_sel:DWORD dst_unused:UNUSED_PAD src0_sel:WORD_1 src1_sel:DWORD
	v_addc_co_u32_e32 v7, vcc, 0, v7, vcc
	v_fma_f16 v11, v150, v10, v11
	v_cmp_gt_i32_e32 vcc, 31, v8
	v_cvt_f32_f16_e32 v11, v11
	v_cndmask_b32_e32 v7, v13, v7, vcc
	v_cmp_ne_u32_e32 vcc, 0, v5
	v_cndmask_b32_e64 v5, 0, 1, vcc
	v_lshl_or_b32 v5, v5, 9, v13
	v_cmp_eq_u32_e32 vcc, s10, v8
	v_cndmask_b32_e32 v5, v7, v5, vcc
	v_cvt_f64_f32_e32 v[7:8], v11
	v_lshrrev_b32_e32 v11, 16, v21
	v_and_or_b32 v5, v11, s11, v5
	v_and_b32_e32 v3, 0xffff, v3
	v_mul_f64 v[7:8], v[7:8], s[2:3]
	v_lshl_or_b32 v3, v5, 16, v3
	v_mov_b32_e32 v5, s4
	v_add_co_u32_e32 v18, vcc, s5, v18
	v_addc_co_u32_e32 v19, vcc, v19, v5, vcc
	global_store_dword v[18:19], v3, off
	v_and_or_b32 v3, v8, s6, v7
	v_cmp_ne_u32_e32 vcc, 0, v3
	v_cndmask_b32_e64 v3, 0, 1, vcc
	v_lshrrev_b32_e32 v5, 8, v8
	v_bfe_u32 v7, v8, 20, 11
	v_mul_f16_sdwa v10, v150, v10 dst_sel:DWORD dst_unused:UNUSED_PAD src0_sel:WORD_1 src1_sel:DWORD
	v_and_or_b32 v3, v5, s7, v3
	v_sub_u32_e32 v11, 0x3f1, v7
	v_fma_f16 v9, v150, v9, -v10
	v_or_b32_e32 v5, 0x1000, v3
	v_med3_i32 v11, v11, 0, 13
	v_cvt_f32_f16_e32 v9, v9
	v_lshrrev_b32_e32 v20, v11, v5
	v_lshlrev_b32_e32 v11, v11, v20
	v_cmp_ne_u32_e32 vcc, v11, v5
	v_cndmask_b32_e64 v5, 0, 1, vcc
	v_add_u32_e32 v7, 0xfffffc10, v7
	v_cvt_f64_f32_e32 v[9:10], v9
	v_or_b32_e32 v5, v20, v5
	v_lshl_or_b32 v11, v7, 12, v3
	v_cmp_gt_i32_e32 vcc, 1, v7
	v_cndmask_b32_e32 v5, v11, v5, vcc
	v_and_b32_e32 v11, 7, v5
	v_cmp_lt_i32_e32 vcc, 5, v11
	v_cmp_eq_u32_e64 s[0:1], 3, v11
	v_mul_f64 v[9:10], v[9:10], s[2:3]
	v_lshrrev_b32_e32 v5, 2, v5
	s_or_b64 vcc, s[0:1], vcc
	v_addc_co_u32_e32 v5, vcc, 0, v5, vcc
	v_cmp_gt_i32_e32 vcc, 31, v7
	v_cndmask_b32_e32 v5, v13, v5, vcc
	v_cmp_ne_u32_e32 vcc, 0, v3
	v_cndmask_b32_e64 v3, 0, 1, vcc
	v_lshl_or_b32 v3, v3, 9, v13
	v_cmp_eq_u32_e32 vcc, s10, v7
	v_cndmask_b32_e32 v3, v5, v3, vcc
	v_lshrrev_b32_e32 v5, 16, v8
	v_and_or_b32 v3, v5, s11, v3
	v_and_or_b32 v5, v10, s6, v9
	v_cmp_ne_u32_e32 vcc, 0, v5
	v_cndmask_b32_e64 v5, 0, 1, vcc
	v_lshrrev_b32_e32 v7, 8, v10
	v_bfe_u32 v8, v10, 20, 11
	v_and_or_b32 v5, v7, s7, v5
	v_sub_u32_e32 v9, 0x3f1, v8
	v_or_b32_e32 v7, 0x1000, v5
	v_med3_i32 v9, v9, 0, 13
	v_lshrrev_b32_e32 v11, v9, v7
	v_lshlrev_b32_e32 v9, v9, v11
	v_cmp_ne_u32_e32 vcc, v9, v7
	v_cndmask_b32_e64 v7, 0, 1, vcc
	v_or_b32_e32 v7, v11, v7
	v_add_u32_e32 v11, 0xfffffc10, v8
	v_lshl_or_b32 v8, v11, 12, v5
	v_cmp_gt_i32_e32 vcc, 1, v11
	v_cndmask_b32_e32 v7, v8, v7, vcc
	v_and_b32_e32 v8, 7, v7
	v_cmp_lt_i32_e32 vcc, 5, v8
	v_cmp_eq_u32_e64 s[0:1], 3, v8
	ds_read2_b32 v[8:9], v127 offset0:34 offset1:51
	v_lshrrev_b32_e32 v7, 2, v7
	s_or_b64 vcc, s[0:1], vcc
	v_addc_co_u32_e32 v7, vcc, 0, v7, vcc
	s_waitcnt lgkmcnt(0)
	v_lshrrev_b32_e32 v22, 16, v8
	v_mul_f16_sdwa v20, v148, v22 dst_sel:DWORD dst_unused:UNUSED_PAD src0_sel:WORD_1 src1_sel:DWORD
	v_fma_f16 v20, v148, v8, v20
	v_cvt_f32_f16_e32 v20, v20
	v_cmp_gt_i32_e32 vcc, 31, v11
	v_cndmask_b32_e32 v7, v13, v7, vcc
	v_cmp_ne_u32_e32 vcc, 0, v5
	v_cvt_f64_f32_e32 v[20:21], v20
	v_cndmask_b32_e64 v5, 0, 1, vcc
	v_lshl_or_b32 v5, v5, 9, v13
	v_cmp_eq_u32_e32 vcc, s10, v11
	v_cndmask_b32_e32 v5, v7, v5, vcc
	v_lshrrev_b32_e32 v7, 16, v10
	v_mul_f64 v[10:11], v[20:21], s[2:3]
	v_and_or_b32 v5, v7, s11, v5
	v_and_b32_e32 v3, 0xffff, v3
	v_lshl_or_b32 v3, v5, 16, v3
	v_mov_b32_e32 v5, s4
	v_add_co_u32_e32 v18, vcc, s5, v18
	v_addc_co_u32_e32 v19, vcc, v19, v5, vcc
	global_store_dword v[18:19], v3, off
	v_and_or_b32 v3, v11, s6, v10
	v_cmp_ne_u32_e32 vcc, 0, v3
	v_cndmask_b32_e64 v3, 0, 1, vcc
	v_lshrrev_b32_e32 v5, 8, v11
	v_bfe_u32 v7, v11, 20, 11
	v_and_or_b32 v3, v5, s7, v3
	v_sub_u32_e32 v10, 0x3f1, v7
	v_or_b32_e32 v5, 0x1000, v3
	v_med3_i32 v10, v10, 0, 13
	v_lshrrev_b32_e32 v20, v10, v5
	v_lshlrev_b32_e32 v10, v10, v20
	v_mul_f16_sdwa v8, v148, v8 dst_sel:DWORD dst_unused:UNUSED_PAD src0_sel:WORD_1 src1_sel:DWORD
	v_cmp_ne_u32_e32 vcc, v10, v5
	v_fma_f16 v8, v148, v22, -v8
	v_cndmask_b32_e64 v5, 0, 1, vcc
	v_add_u32_e32 v10, 0xfffffc10, v7
	v_cvt_f32_f16_e32 v8, v8
	v_or_b32_e32 v5, v20, v5
	v_lshl_or_b32 v7, v10, 12, v3
	v_cmp_gt_i32_e32 vcc, 1, v10
	v_cndmask_b32_e32 v5, v7, v5, vcc
	v_and_b32_e32 v7, 7, v5
	v_cmp_lt_i32_e32 vcc, 5, v7
	v_cmp_eq_u32_e64 s[0:1], 3, v7
	v_cvt_f64_f32_e32 v[7:8], v8
	v_lshrrev_b32_e32 v5, 2, v5
	s_or_b64 vcc, s[0:1], vcc
	v_addc_co_u32_e32 v5, vcc, 0, v5, vcc
	v_mul_f64 v[7:8], v[7:8], s[2:3]
	v_cmp_gt_i32_e32 vcc, 31, v10
	v_cndmask_b32_e32 v5, v13, v5, vcc
	v_cmp_ne_u32_e32 vcc, 0, v3
	v_cndmask_b32_e64 v3, 0, 1, vcc
	v_lshl_or_b32 v3, v3, 9, v13
	v_cmp_eq_u32_e32 vcc, s10, v10
	v_cndmask_b32_e32 v3, v5, v3, vcc
	v_lshrrev_b32_e32 v5, 16, v11
	v_and_or_b32 v3, v5, s11, v3
	v_and_or_b32 v5, v8, s6, v7
	v_cmp_ne_u32_e32 vcc, 0, v5
	v_cndmask_b32_e64 v5, 0, 1, vcc
	v_lshrrev_b32_e32 v7, 8, v8
	v_bfe_u32 v10, v8, 20, 11
	v_and_or_b32 v5, v7, s7, v5
	v_sub_u32_e32 v11, 0x3f1, v10
	v_or_b32_e32 v7, 0x1000, v5
	v_med3_i32 v11, v11, 0, 13
	v_lshrrev_b32_e32 v20, v11, v7
	v_lshlrev_b32_e32 v11, v11, v20
	v_cmp_ne_u32_e32 vcc, v11, v7
	v_cndmask_b32_e64 v7, 0, 1, vcc
	v_add_u32_e32 v10, 0xfffffc10, v10
	v_or_b32_e32 v7, v20, v7
	v_lshl_or_b32 v11, v10, 12, v5
	v_cmp_gt_i32_e32 vcc, 1, v10
	v_cndmask_b32_e32 v7, v11, v7, vcc
	v_and_b32_e32 v11, 7, v7
	v_lshrrev_b32_e32 v20, 16, v4
	v_cmp_lt_i32_e32 vcc, 5, v11
	v_cmp_eq_u32_e64 s[0:1], 3, v11
	v_mul_f16_sdwa v11, v146, v20 dst_sel:DWORD dst_unused:UNUSED_PAD src0_sel:WORD_1 src1_sel:DWORD
	v_fma_f16 v11, v146, v4, v11
	v_lshrrev_b32_e32 v7, 2, v7
	s_or_b64 vcc, s[0:1], vcc
	v_cvt_f32_f16_e32 v11, v11
	v_addc_co_u32_e32 v7, vcc, 0, v7, vcc
	v_cmp_gt_i32_e32 vcc, 31, v10
	v_cndmask_b32_e32 v7, v13, v7, vcc
	v_cmp_ne_u32_e32 vcc, 0, v5
	v_cndmask_b32_e64 v5, 0, 1, vcc
	v_cmp_eq_u32_e32 vcc, s10, v10
	v_cvt_f64_f32_e32 v[10:11], v11
	v_lshl_or_b32 v5, v5, 9, v13
	v_cndmask_b32_e32 v5, v7, v5, vcc
	v_lshrrev_b32_e32 v7, 16, v8
	v_and_or_b32 v5, v7, s11, v5
	v_mul_f64 v[7:8], v[10:11], s[2:3]
	v_and_b32_e32 v3, 0xffff, v3
	v_lshl_or_b32 v3, v5, 16, v3
	v_mov_b32_e32 v5, s12
	v_add_co_u32_e32 v10, vcc, s13, v18
	v_addc_co_u32_e32 v11, vcc, v19, v5, vcc
	global_store_dword v[10:11], v3, off
	v_and_or_b32 v3, v8, s6, v7
	v_cmp_ne_u32_e32 vcc, 0, v3
	v_cndmask_b32_e64 v3, 0, 1, vcc
	v_lshrrev_b32_e32 v5, 8, v8
	v_and_or_b32 v7, v5, s7, v3
	v_bfe_u32 v5, v8, 20, 11
	v_sub_u32_e32 v18, 0x3f1, v5
	v_or_b32_e32 v3, 0x1000, v7
	v_med3_i32 v18, v18, 0, 13
	v_lshrrev_b32_e32 v19, v18, v3
	v_lshlrev_b32_e32 v18, v18, v19
	v_mul_f16_sdwa v4, v146, v4 dst_sel:DWORD dst_unused:UNUSED_PAD src0_sel:WORD_1 src1_sel:DWORD
	v_cmp_ne_u32_e32 vcc, v18, v3
	v_fma_f16 v4, v146, v20, -v4
	v_cndmask_b32_e64 v3, 0, 1, vcc
	v_add_u32_e32 v18, 0xfffffc10, v5
	v_cvt_f32_f16_e32 v4, v4
	v_or_b32_e32 v3, v19, v3
	v_lshl_or_b32 v5, v18, 12, v7
	v_cmp_gt_i32_e32 vcc, 1, v18
	v_cndmask_b32_e32 v3, v5, v3, vcc
	v_and_b32_e32 v5, 7, v3
	v_cmp_lt_i32_e32 vcc, 5, v5
	v_cmp_eq_u32_e64 s[0:1], 3, v5
	v_lshrrev_b32_e32 v5, 2, v3
	v_cvt_f64_f32_e32 v[3:4], v4
	s_or_b64 vcc, s[0:1], vcc
	v_addc_co_u32_e32 v5, vcc, 0, v5, vcc
	v_cmp_gt_i32_e32 vcc, 31, v18
	v_cndmask_b32_e32 v19, v13, v5, vcc
	v_mul_f64 v[4:5], v[3:4], s[2:3]
	v_cmp_ne_u32_e32 vcc, 0, v7
	v_cndmask_b32_e64 v3, 0, 1, vcc
	v_lshl_or_b32 v3, v3, 9, v13
	v_cmp_eq_u32_e32 vcc, s10, v18
	v_cndmask_b32_e32 v3, v19, v3, vcc
	v_lshrrev_b32_e32 v7, 16, v8
	v_and_or_b32 v18, v7, s11, v3
	v_and_or_b32 v3, v5, s6, v4
	v_cmp_ne_u32_e32 vcc, 0, v3
	v_cndmask_b32_e64 v3, 0, 1, vcc
	v_lshrrev_b32_e32 v4, 8, v5
	v_and_or_b32 v7, v4, s7, v3
	v_bfe_u32 v4, v5, 20, 11
	v_sub_u32_e32 v8, 0x3f1, v4
	v_or_b32_e32 v3, 0x1000, v7
	v_med3_i32 v8, v8, 0, 13
	v_lshrrev_b32_e32 v19, v8, v3
	v_lshlrev_b32_e32 v8, v8, v19
	v_cmp_ne_u32_e32 vcc, v8, v3
	v_cndmask_b32_e64 v3, 0, 1, vcc
	v_add_u32_e32 v8, 0xfffffc10, v4
	v_or_b32_e32 v3, v19, v3
	v_lshl_or_b32 v4, v8, 12, v7
	v_cmp_gt_i32_e32 vcc, 1, v8
	v_cndmask_b32_e32 v3, v4, v3, vcc
	v_and_b32_e32 v4, 7, v3
	v_cmp_lt_i32_e32 vcc, 5, v4
	v_cmp_eq_u32_e64 s[0:1], 3, v4
	v_lshrrev_b32_e32 v3, 2, v3
	s_or_b64 vcc, s[0:1], vcc
	v_addc_co_u32_e32 v19, vcc, 0, v3, vcc
	ds_read2_b32 v[3:4], v127 offset0:204 offset1:221
	v_cmp_gt_i32_e32 vcc, 31, v8
	v_cndmask_b32_e32 v19, v13, v19, vcc
	v_cmp_ne_u32_e32 vcc, 0, v7
	v_cndmask_b32_e64 v7, 0, 1, vcc
	s_waitcnt lgkmcnt(0)
	v_lshrrev_b32_e32 v20, 16, v3
	v_mul_f16_sdwa v21, v149, v20 dst_sel:DWORD dst_unused:UNUSED_PAD src0_sel:WORD_1 src1_sel:DWORD
	v_fma_f16 v21, v149, v3, v21
	v_cvt_f32_f16_e32 v21, v21
	v_lshl_or_b32 v7, v7, 9, v13
	v_cmp_eq_u32_e32 vcc, s10, v8
	v_cndmask_b32_e32 v19, v19, v7, vcc
	v_cvt_f64_f32_e32 v[7:8], v21
	v_lshrrev_b32_e32 v5, 16, v5
	v_and_or_b32 v5, v5, s11, v19
	v_and_b32_e32 v18, 0xffff, v18
	v_mul_f64 v[7:8], v[7:8], s[2:3]
	v_lshl_or_b32 v5, v5, 16, v18
	v_mov_b32_e32 v18, s4
	v_add_co_u32_e32 v10, vcc, s5, v10
	v_addc_co_u32_e32 v11, vcc, v11, v18, vcc
	global_store_dword v[10:11], v5, off
	v_and_or_b32 v5, v8, s6, v7
	v_cmp_ne_u32_e32 vcc, 0, v5
	v_cndmask_b32_e64 v5, 0, 1, vcc
	v_lshrrev_b32_e32 v7, 8, v8
	v_bfe_u32 v18, v8, 20, 11
	v_and_or_b32 v5, v7, s7, v5
	v_sub_u32_e32 v19, 0x3f1, v18
	v_or_b32_e32 v7, 0x1000, v5
	v_med3_i32 v19, v19, 0, 13
	v_lshrrev_b32_e32 v21, v19, v7
	v_lshlrev_b32_e32 v19, v19, v21
	v_cmp_ne_u32_e32 vcc, v19, v7
	v_mul_f16_sdwa v3, v149, v3 dst_sel:DWORD dst_unused:UNUSED_PAD src0_sel:WORD_1 src1_sel:DWORD
	v_cndmask_b32_e64 v7, 0, 1, vcc
	v_fma_f16 v3, v149, v20, -v3
	v_or_b32_e32 v7, v21, v7
	v_add_u32_e32 v21, 0xfffffc10, v18
	v_cvt_f32_f16_e32 v3, v3
	v_lshl_or_b32 v18, v21, 12, v5
	v_cmp_gt_i32_e32 vcc, 1, v21
	v_cndmask_b32_e32 v7, v18, v7, vcc
	v_and_b32_e32 v18, 7, v7
	v_cmp_lt_i32_e32 vcc, 5, v18
	v_cmp_eq_u32_e64 s[0:1], 3, v18
	v_cvt_f64_f32_e32 v[18:19], v3
	v_lshrrev_b32_e32 v7, 2, v7
	s_or_b64 vcc, s[0:1], vcc
	v_addc_co_u32_e32 v3, vcc, 0, v7, vcc
	v_mul_f64 v[18:19], v[18:19], s[2:3]
	v_cmp_gt_i32_e32 vcc, 31, v21
	v_cndmask_b32_e32 v3, v13, v3, vcc
	v_cmp_ne_u32_e32 vcc, 0, v5
	v_cndmask_b32_e64 v5, 0, 1, vcc
	v_lshl_or_b32 v5, v5, 9, v13
	v_cmp_eq_u32_e32 vcc, s10, v21
	v_cndmask_b32_e32 v3, v3, v5, vcc
	v_lshrrev_b32_e32 v5, 16, v8
	v_and_or_b32 v3, v5, s11, v3
	v_and_or_b32 v5, v19, s6, v18
	v_cmp_ne_u32_e32 vcc, 0, v5
	v_cndmask_b32_e64 v5, 0, 1, vcc
	v_lshrrev_b32_e32 v7, 8, v19
	v_bfe_u32 v8, v19, 20, 11
	v_and_or_b32 v5, v7, s7, v5
	v_sub_u32_e32 v18, 0x3f1, v8
	v_or_b32_e32 v7, 0x1000, v5
	v_med3_i32 v18, v18, 0, 13
	v_lshrrev_b32_e32 v20, v18, v7
	v_lshlrev_b32_e32 v18, v18, v20
	v_cmp_ne_u32_e32 vcc, v18, v7
	v_cndmask_b32_e64 v7, 0, 1, vcc
	v_add_u32_e32 v8, 0xfffffc10, v8
	v_or_b32_e32 v7, v20, v7
	v_lshl_or_b32 v18, v8, 12, v5
	v_cmp_gt_i32_e32 vcc, 1, v8
	v_cndmask_b32_e32 v7, v18, v7, vcc
	v_and_b32_e32 v18, 7, v7
	v_cmp_lt_i32_e32 vcc, 5, v18
	v_cmp_eq_u32_e64 s[0:1], 3, v18
	v_lshrrev_b32_e32 v18, 16, v6
	v_lshrrev_b32_e32 v7, 2, v7
	s_or_b64 vcc, s[0:1], vcc
	v_mul_f16_sdwa v20, v147, v18 dst_sel:DWORD dst_unused:UNUSED_PAD src0_sel:WORD_1 src1_sel:DWORD
	v_addc_co_u32_e32 v7, vcc, 0, v7, vcc
	v_fma_f16 v20, v147, v6, v20
	v_cmp_gt_i32_e32 vcc, 31, v8
	v_cvt_f32_f16_e32 v20, v20
	v_cndmask_b32_e32 v7, v13, v7, vcc
	v_cmp_ne_u32_e32 vcc, 0, v5
	v_cndmask_b32_e64 v5, 0, 1, vcc
	v_lshl_or_b32 v5, v5, 9, v13
	v_cmp_eq_u32_e32 vcc, s10, v8
	v_cndmask_b32_e32 v5, v7, v5, vcc
	v_cvt_f64_f32_e32 v[7:8], v20
	v_lshrrev_b32_e32 v19, 16, v19
	v_and_or_b32 v5, v19, s11, v5
	v_and_b32_e32 v3, 0xffff, v3
	v_mul_f64 v[7:8], v[7:8], s[2:3]
	v_lshl_or_b32 v3, v5, 16, v3
	v_mov_b32_e32 v5, s4
	v_add_co_u32_e32 v10, vcc, s5, v10
	v_addc_co_u32_e32 v11, vcc, v11, v5, vcc
	global_store_dword v[10:11], v3, off
	v_and_or_b32 v3, v8, s6, v7
	v_cmp_ne_u32_e32 vcc, 0, v3
	v_cndmask_b32_e64 v3, 0, 1, vcc
	v_lshrrev_b32_e32 v5, 8, v8
	v_bfe_u32 v7, v8, 20, 11
	v_and_or_b32 v3, v5, s7, v3
	v_sub_u32_e32 v19, 0x3f1, v7
	v_or_b32_e32 v5, 0x1000, v3
	v_med3_i32 v19, v19, 0, 13
	v_lshrrev_b32_e32 v20, v19, v5
	v_lshlrev_b32_e32 v19, v19, v20
	v_mul_f16_sdwa v6, v147, v6 dst_sel:DWORD dst_unused:UNUSED_PAD src0_sel:WORD_1 src1_sel:DWORD
	v_cmp_ne_u32_e32 vcc, v19, v5
	v_fma_f16 v6, v147, v18, -v6
	v_cndmask_b32_e64 v5, 0, 1, vcc
	v_add_u32_e32 v19, 0xfffffc10, v7
	v_cvt_f32_f16_e32 v6, v6
	v_or_b32_e32 v5, v20, v5
	v_lshl_or_b32 v7, v19, 12, v3
	v_cmp_gt_i32_e32 vcc, 1, v19
	v_cndmask_b32_e32 v5, v7, v5, vcc
	v_and_b32_e32 v7, 7, v5
	v_cmp_lt_i32_e32 vcc, 5, v7
	v_cmp_eq_u32_e64 s[0:1], 3, v7
	v_lshrrev_b32_e32 v7, 2, v5
	v_cvt_f64_f32_e32 v[5:6], v6
	s_or_b64 vcc, s[0:1], vcc
	v_addc_co_u32_e32 v7, vcc, 0, v7, vcc
	v_cmp_gt_i32_e32 vcc, 31, v19
	v_cndmask_b32_e32 v18, v13, v7, vcc
	v_mul_f64 v[6:7], v[5:6], s[2:3]
	v_cmp_ne_u32_e32 vcc, 0, v3
	v_cndmask_b32_e64 v3, 0, 1, vcc
	v_lshl_or_b32 v3, v3, 9, v13
	v_cmp_eq_u32_e32 vcc, s10, v19
	v_cndmask_b32_e32 v3, v18, v3, vcc
	v_lshrrev_b32_e32 v5, 16, v8
	v_and_or_b32 v3, v5, s11, v3
	v_and_or_b32 v5, v7, s6, v6
	v_cmp_ne_u32_e32 vcc, 0, v5
	v_cndmask_b32_e64 v5, 0, 1, vcc
	v_lshrrev_b32_e32 v6, 8, v7
	v_and_or_b32 v8, v6, s7, v5
	v_bfe_u32 v6, v7, 20, 11
	v_sub_u32_e32 v18, 0x3f1, v6
	v_or_b32_e32 v5, 0x1000, v8
	v_med3_i32 v18, v18, 0, 13
	v_lshrrev_b32_e32 v19, v18, v5
	v_lshlrev_b32_e32 v18, v18, v19
	v_cmp_ne_u32_e32 vcc, v18, v5
	v_cndmask_b32_e64 v5, 0, 1, vcc
	v_add_u32_e32 v18, 0xfffffc10, v6
	v_or_b32_e32 v5, v19, v5
	v_lshl_or_b32 v6, v18, 12, v8
	v_cmp_gt_i32_e32 vcc, 1, v18
	v_cndmask_b32_e32 v5, v6, v5, vcc
	v_and_b32_e32 v6, 7, v5
	v_cmp_lt_i32_e32 vcc, 5, v6
	v_cmp_eq_u32_e64 s[0:1], 3, v6
	v_lshrrev_b32_e32 v5, 2, v5
	s_or_b64 vcc, s[0:1], vcc
	v_addc_co_u32_e32 v19, vcc, 0, v5, vcc
	ds_read2_b32 v[5:6], v14 offset0:118 offset1:135
	v_cmp_gt_i32_e32 vcc, 31, v18
	v_cndmask_b32_e32 v19, v13, v19, vcc
	v_cmp_ne_u32_e32 vcc, 0, v8
	v_cndmask_b32_e64 v8, 0, 1, vcc
	s_waitcnt lgkmcnt(0)
	v_lshrrev_b32_e32 v20, 16, v5
	v_mul_f16_sdwa v21, v145, v20 dst_sel:DWORD dst_unused:UNUSED_PAD src0_sel:WORD_1 src1_sel:DWORD
	v_fma_f16 v21, v145, v5, v21
	v_cvt_f32_f16_e32 v21, v21
	v_lshl_or_b32 v8, v8, 9, v13
	v_cmp_eq_u32_e32 vcc, s10, v18
	v_cndmask_b32_e32 v8, v19, v8, vcc
	v_cvt_f64_f32_e32 v[18:19], v21
	v_lshrrev_b32_e32 v7, 16, v7
	v_and_or_b32 v21, v7, s11, v8
	v_and_b32_e32 v3, 0xffff, v3
	v_mul_f64 v[7:8], v[18:19], s[2:3]
	v_mov_b32_e32 v18, s4
	v_add_co_u32_e32 v10, vcc, s5, v10
	v_lshl_or_b32 v3, v21, 16, v3
	v_addc_co_u32_e32 v11, vcc, v11, v18, vcc
	global_store_dword v[10:11], v3, off
	v_and_or_b32 v3, v8, s6, v7
	v_cmp_ne_u32_e32 vcc, 0, v3
	v_cndmask_b32_e64 v3, 0, 1, vcc
	v_lshrrev_b32_e32 v7, 8, v8
	v_bfe_u32 v18, v8, 20, 11
	v_and_or_b32 v3, v7, s7, v3
	v_sub_u32_e32 v19, 0x3f1, v18
	v_or_b32_e32 v7, 0x1000, v3
	v_med3_i32 v19, v19, 0, 13
	v_lshrrev_b32_e32 v21, v19, v7
	v_lshlrev_b32_e32 v19, v19, v21
	v_cmp_ne_u32_e32 vcc, v19, v7
	v_mul_f16_sdwa v5, v145, v5 dst_sel:DWORD dst_unused:UNUSED_PAD src0_sel:WORD_1 src1_sel:DWORD
	v_cndmask_b32_e64 v7, 0, 1, vcc
	v_fma_f16 v5, v145, v20, -v5
	v_or_b32_e32 v7, v21, v7
	v_add_u32_e32 v21, 0xfffffc10, v18
	v_cvt_f32_f16_e32 v5, v5
	v_lshl_or_b32 v18, v21, 12, v3
	v_cmp_gt_i32_e32 vcc, 1, v21
	v_cndmask_b32_e32 v7, v18, v7, vcc
	v_and_b32_e32 v18, 7, v7
	v_cmp_lt_i32_e32 vcc, 5, v18
	v_cmp_eq_u32_e64 s[0:1], 3, v18
	v_cvt_f64_f32_e32 v[18:19], v5
	v_lshrrev_b32_e32 v7, 2, v7
	s_or_b64 vcc, s[0:1], vcc
	v_addc_co_u32_e32 v5, vcc, 0, v7, vcc
	v_mul_f64 v[18:19], v[18:19], s[2:3]
	v_cmp_gt_i32_e32 vcc, 31, v21
	v_cndmask_b32_e32 v5, v13, v5, vcc
	v_cmp_ne_u32_e32 vcc, 0, v3
	v_cndmask_b32_e64 v3, 0, 1, vcc
	v_lshl_or_b32 v3, v3, 9, v13
	v_cmp_eq_u32_e32 vcc, s10, v21
	v_cndmask_b32_e32 v3, v5, v3, vcc
	v_lshrrev_b32_e32 v5, 16, v8
	v_and_or_b32 v3, v5, s11, v3
	v_and_or_b32 v5, v19, s6, v18
	v_cmp_ne_u32_e32 vcc, 0, v5
	v_cndmask_b32_e64 v5, 0, 1, vcc
	v_lshrrev_b32_e32 v7, 8, v19
	v_bfe_u32 v8, v19, 20, 11
	v_and_or_b32 v5, v7, s7, v5
	v_sub_u32_e32 v18, 0x3f1, v8
	v_or_b32_e32 v7, 0x1000, v5
	v_med3_i32 v18, v18, 0, 13
	v_lshrrev_b32_e32 v20, v18, v7
	v_lshlrev_b32_e32 v18, v18, v20
	v_cmp_ne_u32_e32 vcc, v18, v7
	v_cndmask_b32_e64 v7, 0, 1, vcc
	v_add_u32_e32 v8, 0xfffffc10, v8
	v_or_b32_e32 v7, v20, v7
	v_lshl_or_b32 v18, v8, 12, v5
	v_cmp_gt_i32_e32 vcc, 1, v8
	v_cndmask_b32_e32 v7, v18, v7, vcc
	v_and_b32_e32 v18, 7, v7
	v_cmp_lt_i32_e32 vcc, 5, v18
	v_cmp_eq_u32_e64 s[0:1], 3, v18
	v_lshrrev_b32_e32 v18, 16, v12
	v_lshrrev_b32_e32 v7, 2, v7
	s_or_b64 vcc, s[0:1], vcc
	v_mul_f16_sdwa v20, v144, v18 dst_sel:DWORD dst_unused:UNUSED_PAD src0_sel:WORD_1 src1_sel:DWORD
	v_addc_co_u32_e32 v7, vcc, 0, v7, vcc
	v_fma_f16 v20, v144, v12, v20
	v_cmp_gt_i32_e32 vcc, 31, v8
	v_cvt_f32_f16_e32 v20, v20
	v_cndmask_b32_e32 v7, v13, v7, vcc
	v_cmp_ne_u32_e32 vcc, 0, v5
	v_cndmask_b32_e64 v5, 0, 1, vcc
	v_lshl_or_b32 v5, v5, 9, v13
	v_cmp_eq_u32_e32 vcc, s10, v8
	v_cndmask_b32_e32 v5, v7, v5, vcc
	v_cvt_f64_f32_e32 v[7:8], v20
	v_lshrrev_b32_e32 v19, 16, v19
	v_and_or_b32 v5, v19, s11, v5
	v_and_b32_e32 v3, 0xffff, v3
	v_mul_f64 v[7:8], v[7:8], s[2:3]
	v_lshl_or_b32 v3, v5, 16, v3
	v_mov_b32_e32 v5, s4
	v_add_co_u32_e32 v10, vcc, s5, v10
	v_addc_co_u32_e32 v11, vcc, v11, v5, vcc
	global_store_dword v[10:11], v3, off
	v_and_or_b32 v3, v8, s6, v7
	v_cmp_ne_u32_e32 vcc, 0, v3
	v_cndmask_b32_e64 v3, 0, 1, vcc
	v_lshrrev_b32_e32 v5, 8, v8
	v_bfe_u32 v7, v8, 20, 11
	v_and_or_b32 v3, v5, s7, v3
	v_sub_u32_e32 v19, 0x3f1, v7
	v_or_b32_e32 v5, 0x1000, v3
	v_med3_i32 v19, v19, 0, 13
	v_lshrrev_b32_e32 v20, v19, v5
	v_lshlrev_b32_e32 v19, v19, v20
	v_mul_f16_sdwa v12, v144, v12 dst_sel:DWORD dst_unused:UNUSED_PAD src0_sel:WORD_1 src1_sel:DWORD
	v_cmp_ne_u32_e32 vcc, v19, v5
	v_fma_f16 v12, v144, v18, -v12
	v_cndmask_b32_e64 v5, 0, 1, vcc
	v_add_u32_e32 v7, 0xfffffc10, v7
	v_cvt_f32_f16_e32 v12, v12
	v_or_b32_e32 v5, v20, v5
	v_lshl_or_b32 v19, v7, 12, v3
	v_cmp_gt_i32_e32 vcc, 1, v7
	v_cndmask_b32_e32 v5, v19, v5, vcc
	v_and_b32_e32 v19, 7, v5
	v_cmp_lt_i32_e32 vcc, 5, v19
	v_cmp_eq_u32_e64 s[0:1], 3, v19
	v_cvt_f64_f32_e32 v[18:19], v12
	v_lshrrev_b32_e32 v5, 2, v5
	s_or_b64 vcc, s[0:1], vcc
	v_addc_co_u32_e32 v5, vcc, 0, v5, vcc
	v_mul_f64 v[18:19], v[18:19], s[2:3]
	v_cmp_gt_i32_e32 vcc, 31, v7
	v_cndmask_b32_e32 v5, v13, v5, vcc
	v_cmp_ne_u32_e32 vcc, 0, v3
	v_cndmask_b32_e64 v3, 0, 1, vcc
	v_lshl_or_b32 v3, v3, 9, v13
	v_cmp_eq_u32_e32 vcc, s10, v7
	v_cndmask_b32_e32 v3, v5, v3, vcc
	v_lshrrev_b32_e32 v5, 16, v8
	v_and_or_b32 v3, v5, s11, v3
	v_and_or_b32 v5, v19, s6, v18
	v_cmp_ne_u32_e32 vcc, 0, v5
	v_cndmask_b32_e64 v5, 0, 1, vcc
	v_lshrrev_b32_e32 v7, 8, v19
	v_bfe_u32 v8, v19, 20, 11
	v_and_or_b32 v5, v7, s7, v5
	v_sub_u32_e32 v12, 0x3f1, v8
	v_or_b32_e32 v7, 0x1000, v5
	v_med3_i32 v12, v12, 0, 13
	v_lshrrev_b32_e32 v18, v12, v7
	v_lshlrev_b32_e32 v12, v12, v18
	v_cmp_ne_u32_e32 vcc, v12, v7
	v_cndmask_b32_e64 v7, 0, 1, vcc
	v_add_u32_e32 v12, 0xfffffc10, v8
	v_or_b32_e32 v7, v18, v7
	v_lshl_or_b32 v8, v12, 12, v5
	v_cmp_gt_i32_e32 vcc, 1, v12
	v_cndmask_b32_e32 v7, v8, v7, vcc
	v_and_b32_e32 v8, 7, v7
	v_cmp_lt_i32_e32 vcc, 5, v8
	v_cmp_eq_u32_e64 s[0:1], 3, v8
	v_lshrrev_b32_e32 v7, 2, v7
	s_or_b64 vcc, s[0:1], vcc
	v_addc_co_u32_e32 v18, vcc, 0, v7, vcc
	ds_read2_b32 v[7:8], v15 offset0:32 offset1:49
	v_cmp_gt_i32_e32 vcc, 31, v12
	v_cndmask_b32_e32 v15, v13, v18, vcc
	v_cmp_ne_u32_e32 vcc, 0, v5
	v_cndmask_b32_e64 v5, 0, 1, vcc
	s_waitcnt lgkmcnt(0)
	v_lshrrev_b32_e32 v22, 16, v7
	v_mul_f16_sdwa v18, v143, v22 dst_sel:DWORD dst_unused:UNUSED_PAD src0_sel:WORD_1 src1_sel:DWORD
	v_fma_f16 v18, v143, v7, v18
	v_cvt_f32_f16_e32 v18, v18
	v_cmp_eq_u32_e32 vcc, s10, v12
	v_lshrrev_b32_e32 v12, 16, v19
	v_lshl_or_b32 v5, v5, 9, v13
	v_cvt_f64_f32_e32 v[20:21], v18
	v_cndmask_b32_e32 v5, v15, v5, vcc
	v_and_or_b32 v5, v12, s11, v5
	v_and_b32_e32 v3, 0xffff, v3
	v_mul_f64 v[18:19], v[20:21], s[2:3]
	v_lshl_or_b32 v3, v5, 16, v3
	v_mov_b32_e32 v5, s4
	v_add_co_u32_e32 v20, vcc, s5, v10
	v_addc_co_u32_e32 v21, vcc, v11, v5, vcc
	global_store_dword v[20:21], v3, off
	v_and_or_b32 v3, v19, s6, v18
	v_cmp_ne_u32_e32 vcc, 0, v3
	v_cndmask_b32_e64 v3, 0, 1, vcc
	v_lshrrev_b32_e32 v5, 8, v19
	v_bfe_u32 v10, v19, 20, 11
	v_and_or_b32 v3, v5, s7, v3
	v_sub_u32_e32 v11, 0x3f1, v10
	v_or_b32_e32 v5, 0x1000, v3
	v_med3_i32 v11, v11, 0, 13
	v_lshrrev_b32_e32 v12, v11, v5
	v_lshlrev_b32_e32 v11, v11, v12
	v_cmp_ne_u32_e32 vcc, v11, v5
	v_mul_f16_sdwa v7, v143, v7 dst_sel:DWORD dst_unused:UNUSED_PAD src0_sel:WORD_1 src1_sel:DWORD
	v_cndmask_b32_e64 v5, 0, 1, vcc
	v_fma_f16 v7, v143, v22, -v7
	v_or_b32_e32 v5, v12, v5
	v_add_u32_e32 v12, 0xfffffc10, v10
	v_cvt_f32_f16_e32 v7, v7
	v_lshl_or_b32 v10, v12, 12, v3
	v_cmp_gt_i32_e32 vcc, 1, v12
	v_cndmask_b32_e32 v5, v10, v5, vcc
	v_and_b32_e32 v10, 7, v5
	v_cmp_lt_i32_e32 vcc, 5, v10
	v_cmp_eq_u32_e64 s[0:1], 3, v10
	v_cvt_f64_f32_e32 v[10:11], v7
	v_lshrrev_b32_e32 v5, 2, v5
	s_or_b64 vcc, s[0:1], vcc
	v_addc_co_u32_e32 v5, vcc, 0, v5, vcc
	v_mul_f64 v[10:11], v[10:11], s[2:3]
	v_cmp_gt_i32_e32 vcc, 31, v12
	v_cndmask_b32_e32 v5, v13, v5, vcc
	v_cmp_ne_u32_e32 vcc, 0, v3
	v_cndmask_b32_e64 v3, 0, 1, vcc
	v_lshl_or_b32 v3, v3, 9, v13
	v_cmp_eq_u32_e32 vcc, s10, v12
	v_cndmask_b32_e32 v3, v5, v3, vcc
	v_lshrrev_b32_e32 v5, 16, v19
	v_and_or_b32 v5, v5, s11, v3
	v_and_or_b32 v3, v11, s6, v10
	v_cmp_ne_u32_e32 vcc, 0, v3
	v_cndmask_b32_e64 v3, 0, 1, vcc
	v_lshrrev_b32_e32 v7, 8, v11
	v_bfe_u32 v10, v11, 20, 11
	v_and_or_b32 v3, v7, s7, v3
	v_sub_u32_e32 v12, 0x3f1, v10
	v_or_b32_e32 v7, 0x1000, v3
	v_med3_i32 v12, v12, 0, 13
	v_lshrrev_b32_e32 v15, v12, v7
	v_lshlrev_b32_e32 v12, v12, v15
	v_cmp_ne_u32_e32 vcc, v12, v7
	v_cndmask_b32_e64 v7, 0, 1, vcc
	v_add_u32_e32 v10, 0xfffffc10, v10
	v_or_b32_e32 v7, v15, v7
	v_lshl_or_b32 v12, v10, 12, v3
	v_cmp_gt_i32_e32 vcc, 1, v10
	v_cndmask_b32_e32 v7, v12, v7, vcc
	v_and_b32_e32 v12, 7, v7
	v_cmp_lt_i32_e32 vcc, 5, v12
	v_cmp_eq_u32_e64 s[0:1], 3, v12
	v_lshrrev_b32_e32 v7, 2, v7
	s_or_b64 vcc, s[0:1], vcc
	v_addc_co_u32_e32 v7, vcc, 0, v7, vcc
	v_cmp_gt_i32_e32 vcc, 31, v10
	v_cndmask_b32_e32 v7, v13, v7, vcc
	v_cmp_ne_u32_e32 vcc, 0, v3
	v_lshrrev_b32_e32 v12, 16, v9
	v_cndmask_b32_e64 v3, 0, 1, vcc
	v_cmp_eq_u32_e32 vcc, s10, v10
	v_mul_f16_sdwa v10, v140, v12 dst_sel:DWORD dst_unused:UNUSED_PAD src0_sel:WORD_1 src1_sel:DWORD
	v_mad_u64_u32 v[18:19], s[0:1], s8, v142, 0
	v_fma_f16 v10, v140, v9, v10
	v_cvt_f32_f16_e32 v10, v10
	v_lshl_or_b32 v3, v3, 9, v13
	v_cndmask_b32_e32 v7, v7, v3, vcc
	v_mov_b32_e32 v3, v19
	v_mad_u64_u32 v[22:23], s[0:1], s9, v142, v[3:4]
	v_lshrrev_b32_e32 v3, 16, v11
	v_cvt_f64_f32_e32 v[10:11], v10
	v_mov_b32_e32 v19, v22
	v_lshlrev_b64 v[18:19], 2, v[18:19]
	v_and_or_b32 v3, v3, s11, v7
	v_mul_f64 v[10:11], v[10:11], s[2:3]
	v_and_b32_e32 v5, 0xffff, v5
	v_add_co_u32_e32 v15, vcc, v16, v18
	v_lshl_or_b32 v3, v3, 16, v5
	v_addc_co_u32_e32 v16, vcc, v17, v19, vcc
	global_store_dword v[15:16], v3, off
	v_and_or_b32 v3, v11, s6, v10
	v_cmp_ne_u32_e32 vcc, 0, v3
	v_cndmask_b32_e64 v3, 0, 1, vcc
	v_lshrrev_b32_e32 v5, 8, v11
	v_bfe_u32 v7, v11, 20, 11
	v_and_or_b32 v3, v5, s7, v3
	v_sub_u32_e32 v10, 0x3f1, v7
	v_or_b32_e32 v5, 0x1000, v3
	v_med3_i32 v10, v10, 0, 13
	v_lshrrev_b32_e32 v15, v10, v5
	v_lshlrev_b32_e32 v10, v10, v15
	v_mul_f16_sdwa v9, v140, v9 dst_sel:DWORD dst_unused:UNUSED_PAD src0_sel:WORD_1 src1_sel:DWORD
	v_cmp_ne_u32_e32 vcc, v10, v5
	v_fma_f16 v9, v140, v12, -v9
	v_cndmask_b32_e64 v5, 0, 1, vcc
	v_add_u32_e32 v7, 0xfffffc10, v7
	v_cvt_f32_f16_e32 v9, v9
	v_or_b32_e32 v5, v15, v5
	v_lshl_or_b32 v10, v7, 12, v3
	v_cmp_gt_i32_e32 vcc, 1, v7
	v_cndmask_b32_e32 v5, v10, v5, vcc
	v_and_b32_e32 v10, 7, v5
	v_cmp_lt_i32_e32 vcc, 5, v10
	v_cmp_eq_u32_e64 s[0:1], 3, v10
	v_cvt_f64_f32_e32 v[9:10], v9
	v_lshrrev_b32_e32 v5, 2, v5
	s_or_b64 vcc, s[0:1], vcc
	v_addc_co_u32_e32 v5, vcc, 0, v5, vcc
	v_mul_f64 v[15:16], v[9:10], s[2:3]
	v_cmp_gt_i32_e32 vcc, 31, v7
	v_cndmask_b32_e32 v5, v13, v5, vcc
	v_cmp_ne_u32_e32 vcc, 0, v3
	v_cndmask_b32_e64 v3, 0, 1, vcc
	v_lshl_or_b32 v3, v3, 9, v13
	v_cmp_eq_u32_e32 vcc, s10, v7
	v_cndmask_b32_e32 v3, v5, v3, vcc
	v_lshrrev_b32_e32 v5, 16, v11
	v_and_or_b32 v3, v5, s11, v3
	v_and_or_b32 v5, v16, s6, v15
	v_cmp_ne_u32_e32 vcc, 0, v5
	v_cndmask_b32_e64 v5, 0, 1, vcc
	v_lshrrev_b32_e32 v7, 8, v16
	v_bfe_u32 v9, v16, 20, 11
	v_and_or_b32 v5, v7, s7, v5
	v_sub_u32_e32 v10, 0x3f1, v9
	v_or_b32_e32 v7, 0x1000, v5
	v_med3_i32 v10, v10, 0, 13
	v_lshrrev_b32_e32 v11, v10, v7
	v_lshlrev_b32_e32 v10, v10, v11
	v_cmp_ne_u32_e32 vcc, v10, v7
	v_cndmask_b32_e64 v7, 0, 1, vcc
	v_or_b32_e32 v7, v11, v7
	v_add_u32_e32 v11, 0xfffffc10, v9
	v_lshl_or_b32 v9, v11, 12, v5
	v_cmp_gt_i32_e32 vcc, 1, v11
	v_cndmask_b32_e32 v7, v9, v7, vcc
	v_and_b32_e32 v9, 7, v7
	v_cmp_lt_i32_e32 vcc, 5, v9
	v_cmp_eq_u32_e64 s[0:1], 3, v9
	ds_read2_b32 v[9:10], v127 offset0:136 offset1:153
	v_lshrrev_b32_e32 v7, 2, v7
	s_or_b64 vcc, s[0:1], vcc
	v_addc_co_u32_e32 v7, vcc, 0, v7, vcc
	s_waitcnt lgkmcnt(0)
	v_lshrrev_b32_e32 v17, 16, v9
	v_mul_f16_sdwa v12, v141, v17 dst_sel:DWORD dst_unused:UNUSED_PAD src0_sel:WORD_1 src1_sel:DWORD
	v_fma_f16 v12, v141, v9, v12
	v_cvt_f32_f16_e32 v12, v12
	v_cmp_gt_i32_e32 vcc, 31, v11
	v_cndmask_b32_e32 v7, v13, v7, vcc
	v_cmp_ne_u32_e32 vcc, 0, v5
	v_cndmask_b32_e64 v5, 0, 1, vcc
	v_cmp_eq_u32_e32 vcc, s10, v11
	v_cvt_f64_f32_e32 v[11:12], v12
	v_lshl_or_b32 v5, v5, 9, v13
	v_cndmask_b32_e32 v5, v7, v5, vcc
	v_lshrrev_b32_e32 v7, 16, v16
	v_mul_f64 v[11:12], v[11:12], s[2:3]
	v_and_or_b32 v5, v7, s11, v5
	v_mov_b32_e32 v7, 0xfffff9a0
	v_mad_u64_u32 v[15:16], s[0:1], s8, v7, v[20:21]
	s_mul_i32 s0, s9, 0xfffff9a0
	v_and_b32_e32 v3, 0xffff, v3
	s_sub_i32 s0, s0, s8
	v_lshl_or_b32 v3, v5, 16, v3
	v_add_u32_e32 v16, s0, v16
	global_store_dword v[15:16], v3, off
	v_and_or_b32 v3, v12, s6, v11
	v_cmp_ne_u32_e32 vcc, 0, v3
	v_cndmask_b32_e64 v3, 0, 1, vcc
	v_lshrrev_b32_e32 v5, 8, v12
	v_bfe_u32 v7, v12, 20, 11
	v_and_or_b32 v3, v5, s7, v3
	v_sub_u32_e32 v11, 0x3f1, v7
	v_mul_f16_sdwa v9, v141, v9 dst_sel:DWORD dst_unused:UNUSED_PAD src0_sel:WORD_1 src1_sel:DWORD
	v_or_b32_e32 v5, 0x1000, v3
	v_med3_i32 v11, v11, 0, 13
	v_fma_f16 v9, v141, v17, -v9
	v_lshrrev_b32_e32 v18, v11, v5
	v_cvt_f32_f16_e32 v9, v9
	v_lshlrev_b32_e32 v11, v11, v18
	v_cmp_ne_u32_e32 vcc, v11, v5
	v_cndmask_b32_e64 v5, 0, 1, vcc
	v_or_b32_e32 v5, v18, v5
	v_add_u32_e32 v7, 0xfffffc10, v7
	v_cvt_f64_f32_e32 v[17:18], v9
	v_lshl_or_b32 v11, v7, 12, v3
	v_cmp_gt_i32_e32 vcc, 1, v7
	v_cndmask_b32_e32 v5, v11, v5, vcc
	v_and_b32_e32 v11, 7, v5
	v_cmp_lt_i32_e32 vcc, 5, v11
	v_cmp_eq_u32_e64 s[0:1], 3, v11
	v_mul_f64 v[17:18], v[17:18], s[2:3]
	v_lshrrev_b32_e32 v5, 2, v5
	s_or_b64 vcc, s[0:1], vcc
	v_addc_co_u32_e32 v5, vcc, 0, v5, vcc
	v_cmp_gt_i32_e32 vcc, 31, v7
	v_cndmask_b32_e32 v5, v13, v5, vcc
	v_cmp_ne_u32_e32 vcc, 0, v3
	v_cndmask_b32_e64 v3, 0, 1, vcc
	v_lshl_or_b32 v3, v3, 9, v13
	v_cmp_eq_u32_e32 vcc, s10, v7
	v_cndmask_b32_e32 v3, v5, v3, vcc
	v_lshrrev_b32_e32 v5, 16, v12
	v_and_or_b32 v3, v5, s11, v3
	v_and_or_b32 v5, v18, s6, v17
	v_cmp_ne_u32_e32 vcc, 0, v5
	v_cndmask_b32_e64 v5, 0, 1, vcc
	v_lshrrev_b32_e32 v7, 8, v18
	v_bfe_u32 v9, v18, 20, 11
	v_and_or_b32 v5, v7, s7, v5
	v_sub_u32_e32 v11, 0x3f1, v9
	v_or_b32_e32 v7, 0x1000, v5
	v_med3_i32 v11, v11, 0, 13
	v_lshrrev_b32_e32 v12, v11, v7
	v_lshlrev_b32_e32 v11, v11, v12
	v_cmp_ne_u32_e32 vcc, v11, v7
	v_cndmask_b32_e64 v7, 0, 1, vcc
	v_add_u32_e32 v9, 0xfffffc10, v9
	v_or_b32_e32 v7, v12, v7
	v_lshl_or_b32 v11, v9, 12, v5
	v_cmp_gt_i32_e32 vcc, 1, v9
	v_cndmask_b32_e32 v7, v11, v7, vcc
	v_and_b32_e32 v11, 7, v7
	v_lshrrev_b32_e32 v17, 16, v4
	v_cmp_lt_i32_e32 vcc, 5, v11
	v_cmp_eq_u32_e64 s[0:1], 3, v11
	v_mul_f16_sdwa v11, v139, v17 dst_sel:DWORD dst_unused:UNUSED_PAD src0_sel:WORD_1 src1_sel:DWORD
	v_fma_f16 v11, v139, v4, v11
	v_cvt_f32_f16_e32 v11, v11
	v_lshrrev_b32_e32 v7, 2, v7
	s_or_b64 vcc, s[0:1], vcc
	v_addc_co_u32_e32 v7, vcc, 0, v7, vcc
	v_cvt_f64_f32_e32 v[11:12], v11
	v_cmp_gt_i32_e32 vcc, 31, v9
	v_cndmask_b32_e32 v7, v13, v7, vcc
	v_cmp_ne_u32_e32 vcc, 0, v5
	v_mul_f64 v[11:12], v[11:12], s[2:3]
	v_cndmask_b32_e64 v5, 0, 1, vcc
	v_lshl_or_b32 v5, v5, 9, v13
	v_cmp_eq_u32_e32 vcc, s10, v9
	v_cndmask_b32_e32 v5, v7, v5, vcc
	v_lshrrev_b32_e32 v7, 16, v18
	v_and_or_b32 v5, v7, s11, v5
	v_and_b32_e32 v3, 0xffff, v3
	v_lshl_or_b32 v3, v5, 16, v3
	v_mov_b32_e32 v5, s4
	v_add_co_u32_e32 v15, vcc, s5, v15
	v_addc_co_u32_e32 v16, vcc, v16, v5, vcc
	global_store_dword v[15:16], v3, off
	v_and_or_b32 v3, v12, s6, v11
	v_cmp_ne_u32_e32 vcc, 0, v3
	v_cndmask_b32_e64 v3, 0, 1, vcc
	v_lshrrev_b32_e32 v5, 8, v12
	v_and_or_b32 v7, v5, s7, v3
	v_bfe_u32 v5, v12, 20, 11
	v_sub_u32_e32 v9, 0x3f1, v5
	v_or_b32_e32 v3, 0x1000, v7
	v_med3_i32 v9, v9, 0, 13
	v_lshrrev_b32_e32 v11, v9, v3
	v_lshlrev_b32_e32 v9, v9, v11
	v_mul_f16_sdwa v4, v139, v4 dst_sel:DWORD dst_unused:UNUSED_PAD src0_sel:WORD_1 src1_sel:DWORD
	v_cmp_ne_u32_e32 vcc, v9, v3
	v_fma_f16 v4, v139, v17, -v4
	v_cndmask_b32_e64 v3, 0, 1, vcc
	v_add_u32_e32 v9, 0xfffffc10, v5
	v_cvt_f32_f16_e32 v4, v4
	v_or_b32_e32 v3, v11, v3
	v_lshl_or_b32 v5, v9, 12, v7
	v_cmp_gt_i32_e32 vcc, 1, v9
	v_cndmask_b32_e32 v3, v5, v3, vcc
	v_and_b32_e32 v5, 7, v3
	v_cmp_lt_i32_e32 vcc, 5, v5
	v_cmp_eq_u32_e64 s[0:1], 3, v5
	v_lshrrev_b32_e32 v5, 2, v3
	v_cvt_f64_f32_e32 v[3:4], v4
	s_or_b64 vcc, s[0:1], vcc
	v_addc_co_u32_e32 v5, vcc, 0, v5, vcc
	v_cmp_gt_i32_e32 vcc, 31, v9
	v_cndmask_b32_e32 v11, v13, v5, vcc
	v_mul_f64 v[4:5], v[3:4], s[2:3]
	v_cmp_ne_u32_e32 vcc, 0, v7
	v_cndmask_b32_e64 v3, 0, 1, vcc
	v_lshl_or_b32 v3, v3, 9, v13
	v_cmp_eq_u32_e32 vcc, s10, v9
	v_cndmask_b32_e32 v3, v11, v3, vcc
	v_lshrrev_b32_e32 v7, 16, v12
	v_and_or_b32 v7, v7, s11, v3
	v_and_or_b32 v3, v5, s6, v4
	v_cmp_ne_u32_e32 vcc, 0, v3
	v_cndmask_b32_e64 v3, 0, 1, vcc
	v_lshrrev_b32_e32 v4, 8, v5
	v_and_or_b32 v9, v4, s7, v3
	v_bfe_u32 v4, v5, 20, 11
	v_sub_u32_e32 v11, 0x3f1, v4
	v_or_b32_e32 v3, 0x1000, v9
	v_med3_i32 v11, v11, 0, 13
	v_lshrrev_b32_e32 v12, v11, v3
	v_lshlrev_b32_e32 v11, v11, v12
	v_cmp_ne_u32_e32 vcc, v11, v3
	v_cndmask_b32_e64 v3, 0, 1, vcc
	v_add_u32_e32 v11, 0xfffffc10, v4
	v_or_b32_e32 v3, v12, v3
	v_lshl_or_b32 v4, v11, 12, v9
	v_cmp_gt_i32_e32 vcc, 1, v11
	v_cndmask_b32_e32 v3, v4, v3, vcc
	v_and_b32_e32 v4, 7, v3
	v_cmp_lt_i32_e32 vcc, 5, v4
	v_cmp_eq_u32_e64 s[0:1], 3, v4
	v_lshrrev_b32_e32 v3, 2, v3
	s_or_b64 vcc, s[0:1], vcc
	v_addc_co_u32_e32 v12, vcc, 0, v3, vcc
	ds_read2_b32 v[3:4], v14 offset0:50 offset1:67
	v_cmp_gt_i32_e32 vcc, 31, v11
	v_cndmask_b32_e32 v12, v13, v12, vcc
	v_cmp_ne_u32_e32 vcc, 0, v9
	v_cndmask_b32_e64 v9, 0, 1, vcc
	s_waitcnt lgkmcnt(0)
	v_lshrrev_b32_e32 v17, 16, v3
	v_mul_f16_sdwa v18, v138, v17 dst_sel:DWORD dst_unused:UNUSED_PAD src0_sel:WORD_1 src1_sel:DWORD
	v_fma_f16 v18, v138, v3, v18
	v_cvt_f32_f16_e32 v18, v18
	v_lshl_or_b32 v9, v9, 9, v13
	v_cmp_eq_u32_e32 vcc, s10, v11
	v_cndmask_b32_e32 v9, v12, v9, vcc
	v_cvt_f64_f32_e32 v[11:12], v18
	v_lshrrev_b32_e32 v5, 16, v5
	v_and_or_b32 v5, v5, s11, v9
	v_and_b32_e32 v7, 0xffff, v7
	v_mul_f64 v[11:12], v[11:12], s[2:3]
	v_lshl_or_b32 v5, v5, 16, v7
	v_mov_b32_e32 v7, s4
	v_add_co_u32_e32 v15, vcc, s5, v15
	v_addc_co_u32_e32 v16, vcc, v16, v7, vcc
	global_store_dword v[15:16], v5, off
	v_and_or_b32 v5, v12, s6, v11
	v_cmp_ne_u32_e32 vcc, 0, v5
	v_cndmask_b32_e64 v5, 0, 1, vcc
	v_lshrrev_b32_e32 v7, 8, v12
	v_bfe_u32 v9, v12, 20, 11
	v_and_or_b32 v5, v7, s7, v5
	v_sub_u32_e32 v11, 0x3f1, v9
	v_mul_f16_sdwa v3, v138, v3 dst_sel:DWORD dst_unused:UNUSED_PAD src0_sel:WORD_1 src1_sel:DWORD
	v_or_b32_e32 v7, 0x1000, v5
	v_med3_i32 v11, v11, 0, 13
	v_fma_f16 v3, v138, v17, -v3
	v_lshrrev_b32_e32 v18, v11, v7
	v_cvt_f32_f16_e32 v3, v3
	v_lshlrev_b32_e32 v11, v11, v18
	v_cmp_ne_u32_e32 vcc, v11, v7
	v_cndmask_b32_e64 v7, 0, 1, vcc
	v_or_b32_e32 v7, v18, v7
	v_add_u32_e32 v9, 0xfffffc10, v9
	v_cvt_f64_f32_e32 v[17:18], v3
	v_lshl_or_b32 v11, v9, 12, v5
	v_cmp_gt_i32_e32 vcc, 1, v9
	v_cndmask_b32_e32 v7, v11, v7, vcc
	v_and_b32_e32 v11, 7, v7
	v_cmp_lt_i32_e32 vcc, 5, v11
	v_cmp_eq_u32_e64 s[0:1], 3, v11
	v_mul_f64 v[17:18], v[17:18], s[2:3]
	v_lshrrev_b32_e32 v7, 2, v7
	s_or_b64 vcc, s[0:1], vcc
	v_addc_co_u32_e32 v3, vcc, 0, v7, vcc
	v_cmp_gt_i32_e32 vcc, 31, v9
	v_cndmask_b32_e32 v3, v13, v3, vcc
	v_cmp_ne_u32_e32 vcc, 0, v5
	v_cndmask_b32_e64 v5, 0, 1, vcc
	v_lshl_or_b32 v5, v5, 9, v13
	v_cmp_eq_u32_e32 vcc, s10, v9
	v_cndmask_b32_e32 v3, v3, v5, vcc
	v_lshrrev_b32_e32 v5, 16, v12
	v_and_or_b32 v3, v5, s11, v3
	v_and_or_b32 v5, v18, s6, v17
	v_cmp_ne_u32_e32 vcc, 0, v5
	v_cndmask_b32_e64 v5, 0, 1, vcc
	v_lshrrev_b32_e32 v7, 8, v18
	v_bfe_u32 v9, v18, 20, 11
	v_and_or_b32 v5, v7, s7, v5
	v_sub_u32_e32 v11, 0x3f1, v9
	v_or_b32_e32 v7, 0x1000, v5
	v_med3_i32 v11, v11, 0, 13
	v_lshrrev_b32_e32 v12, v11, v7
	v_lshlrev_b32_e32 v11, v11, v12
	v_cmp_ne_u32_e32 vcc, v11, v7
	v_cndmask_b32_e64 v7, 0, 1, vcc
	v_add_u32_e32 v9, 0xfffffc10, v9
	v_or_b32_e32 v7, v12, v7
	v_lshl_or_b32 v11, v9, 12, v5
	v_cmp_gt_i32_e32 vcc, 1, v9
	v_cndmask_b32_e32 v7, v11, v7, vcc
	v_and_b32_e32 v11, 7, v7
	v_lshrrev_b32_e32 v17, 16, v6
	v_cmp_lt_i32_e32 vcc, 5, v11
	v_cmp_eq_u32_e64 s[0:1], 3, v11
	v_mul_f16_sdwa v11, v137, v17 dst_sel:DWORD dst_unused:UNUSED_PAD src0_sel:WORD_1 src1_sel:DWORD
	v_fma_f16 v11, v137, v6, v11
	v_cvt_f32_f16_e32 v11, v11
	v_lshrrev_b32_e32 v7, 2, v7
	s_or_b64 vcc, s[0:1], vcc
	v_addc_co_u32_e32 v7, vcc, 0, v7, vcc
	v_cvt_f64_f32_e32 v[11:12], v11
	v_cmp_gt_i32_e32 vcc, 31, v9
	v_cndmask_b32_e32 v7, v13, v7, vcc
	v_cmp_ne_u32_e32 vcc, 0, v5
	v_mul_f64 v[11:12], v[11:12], s[2:3]
	v_cndmask_b32_e64 v5, 0, 1, vcc
	v_lshl_or_b32 v5, v5, 9, v13
	v_cmp_eq_u32_e32 vcc, s10, v9
	v_cndmask_b32_e32 v5, v7, v5, vcc
	v_lshrrev_b32_e32 v7, 16, v18
	v_and_or_b32 v5, v7, s11, v5
	v_and_b32_e32 v3, 0xffff, v3
	v_lshl_or_b32 v3, v5, 16, v3
	v_mov_b32_e32 v5, s4
	v_add_co_u32_e32 v15, vcc, s5, v15
	v_addc_co_u32_e32 v16, vcc, v16, v5, vcc
	global_store_dword v[15:16], v3, off
	v_and_or_b32 v3, v12, s6, v11
	v_cmp_ne_u32_e32 vcc, 0, v3
	v_cndmask_b32_e64 v3, 0, 1, vcc
	v_lshrrev_b32_e32 v5, 8, v12
	v_bfe_u32 v7, v12, 20, 11
	v_and_or_b32 v3, v5, s7, v3
	v_sub_u32_e32 v9, 0x3f1, v7
	v_or_b32_e32 v5, 0x1000, v3
	v_med3_i32 v9, v9, 0, 13
	v_lshrrev_b32_e32 v11, v9, v5
	v_lshlrev_b32_e32 v9, v9, v11
	v_mul_f16_sdwa v6, v137, v6 dst_sel:DWORD dst_unused:UNUSED_PAD src0_sel:WORD_1 src1_sel:DWORD
	v_cmp_ne_u32_e32 vcc, v9, v5
	v_fma_f16 v6, v137, v17, -v6
	v_cndmask_b32_e64 v5, 0, 1, vcc
	v_add_u32_e32 v9, 0xfffffc10, v7
	v_cvt_f32_f16_e32 v6, v6
	v_or_b32_e32 v5, v11, v5
	v_lshl_or_b32 v7, v9, 12, v3
	v_cmp_gt_i32_e32 vcc, 1, v9
	v_cndmask_b32_e32 v5, v7, v5, vcc
	v_and_b32_e32 v7, 7, v5
	v_cmp_lt_i32_e32 vcc, 5, v7
	v_cmp_eq_u32_e64 s[0:1], 3, v7
	v_lshrrev_b32_e32 v7, 2, v5
	v_cvt_f64_f32_e32 v[5:6], v6
	s_or_b64 vcc, s[0:1], vcc
	v_addc_co_u32_e32 v7, vcc, 0, v7, vcc
	v_cmp_gt_i32_e32 vcc, 31, v9
	v_cndmask_b32_e32 v11, v13, v7, vcc
	v_mul_f64 v[6:7], v[5:6], s[2:3]
	v_cmp_ne_u32_e32 vcc, 0, v3
	v_cndmask_b32_e64 v3, 0, 1, vcc
	v_lshl_or_b32 v3, v3, 9, v13
	v_cmp_eq_u32_e32 vcc, s10, v9
	v_cndmask_b32_e32 v3, v11, v3, vcc
	v_lshrrev_b32_e32 v5, 16, v12
	v_and_or_b32 v3, v5, s11, v3
	v_and_or_b32 v5, v7, s6, v6
	v_cmp_ne_u32_e32 vcc, 0, v5
	v_cndmask_b32_e64 v5, 0, 1, vcc
	v_lshrrev_b32_e32 v6, 8, v7
	v_and_or_b32 v9, v6, s7, v5
	v_bfe_u32 v6, v7, 20, 11
	v_sub_u32_e32 v11, 0x3f1, v6
	v_or_b32_e32 v5, 0x1000, v9
	v_med3_i32 v11, v11, 0, 13
	v_lshrrev_b32_e32 v12, v11, v5
	v_lshlrev_b32_e32 v11, v11, v12
	v_cmp_ne_u32_e32 vcc, v11, v5
	v_cndmask_b32_e64 v5, 0, 1, vcc
	v_add_u32_e32 v11, 0xfffffc10, v6
	v_or_b32_e32 v5, v12, v5
	v_lshl_or_b32 v6, v11, 12, v9
	v_cmp_gt_i32_e32 vcc, 1, v11
	v_cndmask_b32_e32 v5, v6, v5, vcc
	v_and_b32_e32 v6, 7, v5
	v_cmp_lt_i32_e32 vcc, 5, v6
	v_cmp_eq_u32_e64 s[0:1], 3, v6
	v_lshrrev_b32_e32 v5, 2, v5
	s_or_b64 vcc, s[0:1], vcc
	v_addc_co_u32_e32 v12, vcc, 0, v5, vcc
	ds_read2_b32 v[5:6], v14 offset0:220 offset1:237
	v_cmp_gt_i32_e32 vcc, 31, v11
	v_cndmask_b32_e32 v12, v13, v12, vcc
	v_cmp_ne_u32_e32 vcc, 0, v9
	v_cndmask_b32_e64 v9, 0, 1, vcc
	s_waitcnt lgkmcnt(0)
	v_lshrrev_b32_e32 v17, 16, v5
	v_mul_f16_sdwa v14, v135, v17 dst_sel:DWORD dst_unused:UNUSED_PAD src0_sel:WORD_1 src1_sel:DWORD
	v_fma_f16 v14, v135, v5, v14
	v_cvt_f32_f16_e32 v14, v14
	v_lshl_or_b32 v9, v9, 9, v13
	v_cmp_eq_u32_e32 vcc, s10, v11
	v_cndmask_b32_e32 v9, v12, v9, vcc
	v_cvt_f64_f32_e32 v[11:12], v14
	v_lshrrev_b32_e32 v7, 16, v7
	v_and_or_b32 v7, v7, s11, v9
	v_and_b32_e32 v3, 0xffff, v3
	v_mul_f64 v[11:12], v[11:12], s[2:3]
	v_lshl_or_b32 v3, v7, 16, v3
	v_mov_b32_e32 v7, s4
	v_add_co_u32_e32 v14, vcc, s5, v15
	v_addc_co_u32_e32 v15, vcc, v16, v7, vcc
	global_store_dword v[14:15], v3, off
	v_and_or_b32 v3, v12, s6, v11
	v_cmp_ne_u32_e32 vcc, 0, v3
	v_cndmask_b32_e64 v3, 0, 1, vcc
	v_lshrrev_b32_e32 v7, 8, v12
	v_bfe_u32 v9, v12, 20, 11
	v_and_or_b32 v3, v7, s7, v3
	v_sub_u32_e32 v11, 0x3f1, v9
	v_mul_f16_sdwa v5, v135, v5 dst_sel:DWORD dst_unused:UNUSED_PAD src0_sel:WORD_1 src1_sel:DWORD
	v_or_b32_e32 v7, 0x1000, v3
	v_med3_i32 v11, v11, 0, 13
	v_fma_f16 v5, v135, v17, -v5
	v_lshrrev_b32_e32 v16, v11, v7
	v_cvt_f32_f16_e32 v5, v5
	v_lshlrev_b32_e32 v11, v11, v16
	v_cmp_ne_u32_e32 vcc, v11, v7
	v_cndmask_b32_e64 v7, 0, 1, vcc
	v_or_b32_e32 v7, v16, v7
	v_add_u32_e32 v9, 0xfffffc10, v9
	v_cvt_f64_f32_e32 v[16:17], v5
	v_lshl_or_b32 v11, v9, 12, v3
	v_cmp_gt_i32_e32 vcc, 1, v9
	v_cndmask_b32_e32 v7, v11, v7, vcc
	v_and_b32_e32 v11, 7, v7
	v_cmp_lt_i32_e32 vcc, 5, v11
	v_cmp_eq_u32_e64 s[0:1], 3, v11
	v_mul_f64 v[16:17], v[16:17], s[2:3]
	v_lshrrev_b32_e32 v7, 2, v7
	s_or_b64 vcc, s[0:1], vcc
	v_addc_co_u32_e32 v5, vcc, 0, v7, vcc
	v_cmp_gt_i32_e32 vcc, 31, v9
	v_cndmask_b32_e32 v5, v13, v5, vcc
	v_cmp_ne_u32_e32 vcc, 0, v3
	v_cndmask_b32_e64 v3, 0, 1, vcc
	v_lshl_or_b32 v3, v3, 9, v13
	v_cmp_eq_u32_e32 vcc, s10, v9
	v_cndmask_b32_e32 v3, v5, v3, vcc
	v_lshrrev_b32_e32 v5, 16, v12
	v_and_or_b32 v3, v5, s11, v3
	v_and_or_b32 v5, v17, s6, v16
	v_cmp_ne_u32_e32 vcc, 0, v5
	v_cndmask_b32_e64 v5, 0, 1, vcc
	v_lshrrev_b32_e32 v7, 8, v17
	v_bfe_u32 v9, v17, 20, 11
	v_and_or_b32 v5, v7, s7, v5
	v_sub_u32_e32 v11, 0x3f1, v9
	v_or_b32_e32 v7, 0x1000, v5
	v_med3_i32 v11, v11, 0, 13
	v_lshrrev_b32_e32 v12, v11, v7
	v_lshlrev_b32_e32 v11, v11, v12
	v_cmp_ne_u32_e32 vcc, v11, v7
	v_cndmask_b32_e64 v7, 0, 1, vcc
	v_add_u32_e32 v9, 0xfffffc10, v9
	v_or_b32_e32 v7, v12, v7
	v_lshl_or_b32 v11, v9, 12, v5
	v_cmp_gt_i32_e32 vcc, 1, v9
	v_cndmask_b32_e32 v7, v11, v7, vcc
	v_and_b32_e32 v11, 7, v7
	v_lshrrev_b32_e32 v16, 16, v8
	v_cmp_lt_i32_e32 vcc, 5, v11
	v_cmp_eq_u32_e64 s[0:1], 3, v11
	v_mul_f16_sdwa v11, v136, v16 dst_sel:DWORD dst_unused:UNUSED_PAD src0_sel:WORD_1 src1_sel:DWORD
	v_fma_f16 v11, v136, v8, v11
	v_cvt_f32_f16_e32 v11, v11
	v_lshrrev_b32_e32 v7, 2, v7
	s_or_b64 vcc, s[0:1], vcc
	v_addc_co_u32_e32 v7, vcc, 0, v7, vcc
	v_cvt_f64_f32_e32 v[11:12], v11
	v_cmp_gt_i32_e32 vcc, 31, v9
	v_cndmask_b32_e32 v7, v13, v7, vcc
	v_cmp_ne_u32_e32 vcc, 0, v5
	v_mul_f64 v[11:12], v[11:12], s[2:3]
	v_cndmask_b32_e64 v5, 0, 1, vcc
	v_lshl_or_b32 v5, v5, 9, v13
	v_cmp_eq_u32_e32 vcc, s10, v9
	v_cndmask_b32_e32 v5, v7, v5, vcc
	v_lshrrev_b32_e32 v7, 16, v17
	v_and_or_b32 v5, v7, s11, v5
	v_and_b32_e32 v3, 0xffff, v3
	v_lshl_or_b32 v3, v5, 16, v3
	v_mov_b32_e32 v5, s4
	v_add_co_u32_e32 v14, vcc, s5, v14
	v_addc_co_u32_e32 v15, vcc, v15, v5, vcc
	global_store_dword v[14:15], v3, off
	v_and_or_b32 v3, v12, s6, v11
	v_cmp_ne_u32_e32 vcc, 0, v3
	v_cndmask_b32_e64 v3, 0, 1, vcc
	v_lshrrev_b32_e32 v5, 8, v12
	v_bfe_u32 v7, v12, 20, 11
	v_and_or_b32 v3, v5, s7, v3
	v_sub_u32_e32 v9, 0x3f1, v7
	v_or_b32_e32 v5, 0x1000, v3
	v_med3_i32 v9, v9, 0, 13
	v_lshrrev_b32_e32 v11, v9, v5
	v_lshlrev_b32_e32 v9, v9, v11
	v_mul_f16_sdwa v8, v136, v8 dst_sel:DWORD dst_unused:UNUSED_PAD src0_sel:WORD_1 src1_sel:DWORD
	v_cmp_ne_u32_e32 vcc, v9, v5
	v_fma_f16 v8, v136, v16, -v8
	v_cndmask_b32_e64 v5, 0, 1, vcc
	v_add_u32_e32 v9, 0xfffffc10, v7
	v_cvt_f32_f16_e32 v8, v8
	v_or_b32_e32 v5, v11, v5
	v_lshl_or_b32 v7, v9, 12, v3
	v_cmp_gt_i32_e32 vcc, 1, v9
	v_cndmask_b32_e32 v5, v7, v5, vcc
	v_and_b32_e32 v7, 7, v5
	v_cmp_lt_i32_e32 vcc, 5, v7
	v_cmp_eq_u32_e64 s[0:1], 3, v7
	v_cvt_f64_f32_e32 v[7:8], v8
	v_lshrrev_b32_e32 v5, 2, v5
	s_or_b64 vcc, s[0:1], vcc
	v_addc_co_u32_e32 v5, vcc, 0, v5, vcc
	v_mul_f64 v[7:8], v[7:8], s[2:3]
	v_cmp_gt_i32_e32 vcc, 31, v9
	v_cndmask_b32_e32 v5, v13, v5, vcc
	v_cmp_ne_u32_e32 vcc, 0, v3
	v_cndmask_b32_e64 v3, 0, 1, vcc
	v_lshl_or_b32 v3, v3, 9, v13
	v_cmp_eq_u32_e32 vcc, s10, v9
	v_cndmask_b32_e32 v3, v5, v3, vcc
	v_lshrrev_b32_e32 v5, 16, v12
	v_and_or_b32 v3, v5, s11, v3
	v_and_or_b32 v5, v8, s6, v7
	v_cmp_ne_u32_e32 vcc, 0, v5
	v_cndmask_b32_e64 v5, 0, 1, vcc
	v_lshrrev_b32_e32 v7, 8, v8
	v_bfe_u32 v9, v8, 20, 11
	v_and_or_b32 v5, v7, s7, v5
	v_sub_u32_e32 v11, 0x3f1, v9
	v_or_b32_e32 v7, 0x1000, v5
	v_med3_i32 v11, v11, 0, 13
	v_lshrrev_b32_e32 v12, v11, v7
	v_lshlrev_b32_e32 v11, v11, v12
	v_cmp_ne_u32_e32 vcc, v11, v7
	v_cndmask_b32_e64 v7, 0, 1, vcc
	v_add_u32_e32 v9, 0xfffffc10, v9
	v_or_b32_e32 v7, v12, v7
	v_lshl_or_b32 v11, v9, 12, v5
	v_cmp_gt_i32_e32 vcc, 1, v9
	v_cndmask_b32_e32 v7, v11, v7, vcc
	v_and_b32_e32 v11, 7, v7
	v_lshrrev_b32_e32 v16, 16, v0
	v_cmp_lt_i32_e32 vcc, 5, v11
	v_cmp_eq_u32_e64 s[0:1], 3, v11
	v_mul_f16_sdwa v11, v134, v16 dst_sel:DWORD dst_unused:UNUSED_PAD src0_sel:WORD_1 src1_sel:DWORD
	v_fma_f16 v11, v134, v0, v11
	v_cvt_f32_f16_e32 v11, v11
	v_lshrrev_b32_e32 v7, 2, v7
	s_or_b64 vcc, s[0:1], vcc
	v_addc_co_u32_e32 v7, vcc, 0, v7, vcc
	v_cmp_gt_i32_e32 vcc, 31, v9
	v_cndmask_b32_e32 v7, v13, v7, vcc
	v_cmp_ne_u32_e32 vcc, 0, v5
	v_cvt_f64_f32_e32 v[11:12], v11
	v_cndmask_b32_e64 v5, 0, 1, vcc
	v_lshl_or_b32 v5, v5, 9, v13
	v_cmp_eq_u32_e32 vcc, s10, v9
	v_cndmask_b32_e32 v5, v7, v5, vcc
	v_lshrrev_b32_e32 v7, 16, v8
	v_and_or_b32 v5, v7, s11, v5
	v_mul_f64 v[7:8], v[11:12], s[2:3]
	v_and_b32_e32 v3, 0xffff, v3
	v_lshl_or_b32 v3, v5, 16, v3
	v_mov_b32_e32 v5, s4
	v_add_co_u32_e32 v11, vcc, s5, v14
	v_addc_co_u32_e32 v12, vcc, v15, v5, vcc
	global_store_dword v[11:12], v3, off
	v_and_or_b32 v3, v8, s6, v7
	v_cmp_ne_u32_e32 vcc, 0, v3
	v_cndmask_b32_e64 v3, 0, 1, vcc
	v_lshrrev_b32_e32 v5, 8, v8
	v_bfe_u32 v7, v8, 20, 11
	v_and_or_b32 v3, v5, s7, v3
	v_sub_u32_e32 v9, 0x3f1, v7
	v_mul_f16_sdwa v0, v134, v0 dst_sel:DWORD dst_unused:UNUSED_PAD src0_sel:WORD_1 src1_sel:DWORD
	v_or_b32_e32 v5, 0x1000, v3
	v_med3_i32 v9, v9, 0, 13
	v_fma_f16 v0, v134, v16, -v0
	v_lshrrev_b32_e32 v14, v9, v5
	v_cvt_f32_f16_e32 v0, v0
	v_lshlrev_b32_e32 v9, v9, v14
	v_cmp_ne_u32_e32 vcc, v9, v5
	v_cndmask_b32_e64 v5, 0, 1, vcc
	v_or_b32_e32 v5, v14, v5
	v_add_u32_e32 v7, 0xfffffc10, v7
	v_cvt_f64_f32_e32 v[14:15], v0
	v_lshl_or_b32 v9, v7, 12, v3
	v_cmp_gt_i32_e32 vcc, 1, v7
	v_cndmask_b32_e32 v5, v9, v5, vcc
	v_and_b32_e32 v9, 7, v5
	v_cmp_lt_i32_e32 vcc, 5, v9
	v_cmp_eq_u32_e64 s[0:1], 3, v9
	v_mul_f64 v[14:15], v[14:15], s[2:3]
	v_lshrrev_b32_e32 v5, 2, v5
	s_or_b64 vcc, s[0:1], vcc
	v_addc_co_u32_e32 v0, vcc, 0, v5, vcc
	v_cmp_gt_i32_e32 vcc, 31, v7
	v_cndmask_b32_e32 v0, v13, v0, vcc
	v_cmp_ne_u32_e32 vcc, 0, v3
	v_cndmask_b32_e64 v3, 0, 1, vcc
	v_lshl_or_b32 v3, v3, 9, v13
	v_cmp_eq_u32_e32 vcc, s10, v7
	v_cndmask_b32_e32 v0, v0, v3, vcc
	v_lshrrev_b32_e32 v3, 16, v8
	v_and_or_b32 v0, v3, s11, v0
	v_and_or_b32 v3, v15, s6, v14
	v_cmp_ne_u32_e32 vcc, 0, v3
	v_cndmask_b32_e64 v3, 0, 1, vcc
	v_lshrrev_b32_e32 v5, 8, v15
	v_bfe_u32 v7, v15, 20, 11
	v_and_or_b32 v3, v5, s7, v3
	v_sub_u32_e32 v8, 0x3f1, v7
	v_or_b32_e32 v5, 0x1000, v3
	v_med3_i32 v8, v8, 0, 13
	v_lshrrev_b32_e32 v9, v8, v5
	v_lshlrev_b32_e32 v8, v8, v9
	v_cmp_ne_u32_e32 vcc, v8, v5
	v_cndmask_b32_e64 v5, 0, 1, vcc
	v_add_u32_e32 v7, 0xfffffc10, v7
	v_or_b32_e32 v5, v9, v5
	v_lshl_or_b32 v8, v7, 12, v3
	v_cmp_gt_i32_e32 vcc, 1, v7
	v_cndmask_b32_e32 v5, v8, v5, vcc
	v_and_b32_e32 v8, 7, v5
	v_lshrrev_b32_e32 v9, 16, v10
	v_cmp_lt_i32_e32 vcc, 5, v8
	v_cmp_eq_u32_e64 s[0:1], 3, v8
	v_mul_f16_sdwa v8, v133, v9 dst_sel:DWORD dst_unused:UNUSED_PAD src0_sel:WORD_1 src1_sel:DWORD
	v_fma_f16 v8, v133, v10, v8
	v_lshrrev_b32_e32 v5, 2, v5
	s_or_b64 vcc, s[0:1], vcc
	v_cvt_f32_f16_e32 v8, v8
	v_addc_co_u32_e32 v5, vcc, 0, v5, vcc
	v_cmp_gt_i32_e32 vcc, 31, v7
	v_cndmask_b32_e32 v5, v13, v5, vcc
	v_cmp_ne_u32_e32 vcc, 0, v3
	v_cndmask_b32_e64 v3, 0, 1, vcc
	v_cmp_eq_u32_e32 vcc, s10, v7
	v_cvt_f64_f32_e32 v[7:8], v8
	v_lshl_or_b32 v3, v3, 9, v13
	v_cndmask_b32_e32 v3, v5, v3, vcc
	v_lshrrev_b32_e32 v5, 16, v15
	v_mul_f64 v[7:8], v[7:8], s[2:3]
	v_and_or_b32 v3, v5, s11, v3
	v_and_b32_e32 v0, 0xffff, v0
	v_lshl_or_b32 v0, v3, 16, v0
	v_mov_b32_e32 v3, s12
	v_add_co_u32_e32 v11, vcc, s13, v11
	v_addc_co_u32_e32 v12, vcc, v12, v3, vcc
	global_store_dword v[11:12], v0, off
	v_and_or_b32 v0, v8, s6, v7
	v_cmp_ne_u32_e32 vcc, 0, v0
	v_cndmask_b32_e64 v0, 0, 1, vcc
	v_lshrrev_b32_e32 v3, 8, v8
	v_bfe_u32 v5, v8, 20, 11
	v_mul_f16_sdwa v10, v133, v10 dst_sel:DWORD dst_unused:UNUSED_PAD src0_sel:WORD_1 src1_sel:DWORD
	v_and_or_b32 v0, v3, s7, v0
	v_sub_u32_e32 v7, 0x3f1, v5
	v_fma_f16 v9, v133, v9, -v10
	v_or_b32_e32 v3, 0x1000, v0
	v_med3_i32 v7, v7, 0, 13
	v_cvt_f32_f16_e32 v9, v9
	v_lshrrev_b32_e32 v14, v7, v3
	v_lshlrev_b32_e32 v7, v7, v14
	v_cmp_ne_u32_e32 vcc, v7, v3
	v_cndmask_b32_e64 v3, 0, 1, vcc
	v_add_u32_e32 v5, 0xfffffc10, v5
	v_cvt_f64_f32_e32 v[9:10], v9
	v_or_b32_e32 v3, v14, v3
	v_lshl_or_b32 v7, v5, 12, v0
	v_cmp_gt_i32_e32 vcc, 1, v5
	v_cndmask_b32_e32 v3, v7, v3, vcc
	v_and_b32_e32 v7, 7, v3
	v_cmp_lt_i32_e32 vcc, 5, v7
	v_cmp_eq_u32_e64 s[0:1], 3, v7
	v_mul_f64 v[9:10], v[9:10], s[2:3]
	v_lshrrev_b32_e32 v3, 2, v3
	s_or_b64 vcc, s[0:1], vcc
	v_addc_co_u32_e32 v3, vcc, 0, v3, vcc
	v_cmp_gt_i32_e32 vcc, 31, v5
	v_cndmask_b32_e32 v3, v13, v3, vcc
	v_cmp_ne_u32_e32 vcc, 0, v0
	v_cndmask_b32_e64 v0, 0, 1, vcc
	v_lshl_or_b32 v0, v0, 9, v13
	v_cmp_eq_u32_e32 vcc, s10, v5
	v_cndmask_b32_e32 v0, v3, v0, vcc
	v_lshrrev_b32_e32 v3, 16, v8
	v_and_or_b32 v0, v3, s11, v0
	v_and_or_b32 v3, v10, s6, v9
	v_cmp_ne_u32_e32 vcc, 0, v3
	v_cndmask_b32_e64 v3, 0, 1, vcc
	v_lshrrev_b32_e32 v5, 8, v10
	v_bfe_u32 v7, v10, 20, 11
	v_and_or_b32 v3, v5, s7, v3
	v_sub_u32_e32 v8, 0x3f1, v7
	v_or_b32_e32 v5, 0x1000, v3
	v_med3_i32 v8, v8, 0, 13
	v_lshrrev_b32_e32 v9, v8, v5
	v_lshlrev_b32_e32 v8, v8, v9
	v_cmp_ne_u32_e32 vcc, v8, v5
	v_cndmask_b32_e64 v5, 0, 1, vcc
	v_add_u32_e32 v7, 0xfffffc10, v7
	v_or_b32_e32 v5, v9, v5
	v_lshl_or_b32 v8, v7, 12, v3
	v_cmp_gt_i32_e32 vcc, 1, v7
	v_cndmask_b32_e32 v5, v8, v5, vcc
	v_and_b32_e32 v8, 7, v5
	v_lshrrev_b32_e32 v14, 16, v1
	v_cmp_lt_i32_e32 vcc, 5, v8
	v_cmp_eq_u32_e64 s[0:1], 3, v8
	v_mul_f16_sdwa v8, v132, v14 dst_sel:DWORD dst_unused:UNUSED_PAD src0_sel:WORD_1 src1_sel:DWORD
	v_fma_f16 v8, v132, v1, v8
	v_lshrrev_b32_e32 v5, 2, v5
	s_or_b64 vcc, s[0:1], vcc
	v_cvt_f32_f16_e32 v8, v8
	v_addc_co_u32_e32 v5, vcc, 0, v5, vcc
	v_cmp_gt_i32_e32 vcc, 31, v7
	v_cndmask_b32_e32 v5, v13, v5, vcc
	v_cmp_ne_u32_e32 vcc, 0, v3
	v_cndmask_b32_e64 v3, 0, 1, vcc
	v_cmp_eq_u32_e32 vcc, s10, v7
	v_cvt_f64_f32_e32 v[7:8], v8
	v_lshl_or_b32 v3, v3, 9, v13
	v_cndmask_b32_e32 v3, v5, v3, vcc
	v_lshrrev_b32_e32 v5, 16, v10
	v_mul_f64 v[7:8], v[7:8], s[2:3]
	v_and_or_b32 v3, v5, s11, v3
	v_and_b32_e32 v0, 0xffff, v0
	v_lshl_or_b32 v0, v3, 16, v0
	v_mov_b32_e32 v3, s4
	v_add_co_u32_e32 v9, vcc, s5, v11
	v_addc_co_u32_e32 v10, vcc, v12, v3, vcc
	global_store_dword v[9:10], v0, off
	v_and_or_b32 v0, v8, s6, v7
	v_cmp_ne_u32_e32 vcc, 0, v0
	v_cndmask_b32_e64 v0, 0, 1, vcc
	v_lshrrev_b32_e32 v3, 8, v8
	v_bfe_u32 v5, v8, 20, 11
	v_and_or_b32 v3, v3, s7, v0
	v_sub_u32_e32 v7, 0x3f1, v5
	v_or_b32_e32 v0, 0x1000, v3
	v_med3_i32 v7, v7, 0, 13
	v_lshrrev_b32_e32 v11, v7, v0
	v_lshlrev_b32_e32 v7, v7, v11
	v_mul_f16_sdwa v1, v132, v1 dst_sel:DWORD dst_unused:UNUSED_PAD src0_sel:WORD_1 src1_sel:DWORD
	v_cmp_ne_u32_e32 vcc, v7, v0
	v_fma_f16 v1, v132, v14, -v1
	v_cndmask_b32_e64 v0, 0, 1, vcc
	v_add_u32_e32 v5, 0xfffffc10, v5
	v_cvt_f32_f16_e32 v1, v1
	v_or_b32_e32 v0, v11, v0
	v_lshl_or_b32 v7, v5, 12, v3
	v_cmp_gt_i32_e32 vcc, 1, v5
	v_cndmask_b32_e32 v0, v7, v0, vcc
	v_and_b32_e32 v7, 7, v0
	v_cmp_lt_i32_e32 vcc, 5, v7
	v_cmp_eq_u32_e64 s[0:1], 3, v7
	v_lshrrev_b32_e32 v7, 2, v0
	v_cvt_f64_f32_e32 v[0:1], v1
	s_or_b64 vcc, s[0:1], vcc
	v_addc_co_u32_e32 v7, vcc, 0, v7, vcc
	v_mul_f64 v[0:1], v[0:1], s[2:3]
	v_cmp_gt_i32_e32 vcc, 31, v5
	v_cndmask_b32_e32 v7, v13, v7, vcc
	v_cmp_ne_u32_e32 vcc, 0, v3
	v_cndmask_b32_e64 v3, 0, 1, vcc
	v_lshl_or_b32 v3, v3, 9, v13
	v_cmp_eq_u32_e32 vcc, s10, v5
	v_cndmask_b32_e32 v3, v7, v3, vcc
	v_and_or_b32 v0, v1, s6, v0
	v_lshrrev_b32_e32 v5, 16, v8
	v_cmp_ne_u32_e32 vcc, 0, v0
	v_and_or_b32 v3, v5, s11, v3
	v_cndmask_b32_e64 v0, 0, 1, vcc
	v_lshrrev_b32_e32 v5, 8, v1
	v_bfe_u32 v7, v1, 20, 11
	v_and_or_b32 v0, v5, s7, v0
	v_sub_u32_e32 v8, 0x3f1, v7
	v_or_b32_e32 v5, 0x1000, v0
	v_med3_i32 v8, v8, 0, 13
	v_lshrrev_b32_e32 v11, v8, v5
	v_lshlrev_b32_e32 v8, v8, v11
	v_cmp_ne_u32_e32 vcc, v8, v5
	v_cndmask_b32_e64 v5, 0, 1, vcc
	v_add_u32_e32 v7, 0xfffffc10, v7
	v_or_b32_e32 v5, v11, v5
	v_lshl_or_b32 v8, v7, 12, v0
	v_cmp_gt_i32_e32 vcc, 1, v7
	v_cndmask_b32_e32 v5, v8, v5, vcc
	v_and_b32_e32 v8, 7, v5
	v_lshrrev_b32_e32 v11, 16, v4
	v_cmp_lt_i32_e32 vcc, 5, v8
	v_cmp_eq_u32_e64 s[0:1], 3, v8
	v_mul_f16_sdwa v8, v131, v11 dst_sel:DWORD dst_unused:UNUSED_PAD src0_sel:WORD_1 src1_sel:DWORD
	v_fma_f16 v8, v131, v4, v8
	v_lshrrev_b32_e32 v5, 2, v5
	s_or_b64 vcc, s[0:1], vcc
	v_cvt_f32_f16_e32 v8, v8
	v_addc_co_u32_e32 v5, vcc, 0, v5, vcc
	v_cmp_gt_i32_e32 vcc, 31, v7
	v_cndmask_b32_e32 v5, v13, v5, vcc
	v_cmp_ne_u32_e32 vcc, 0, v0
	v_cndmask_b32_e64 v0, 0, 1, vcc
	v_cmp_eq_u32_e32 vcc, s10, v7
	v_cvt_f64_f32_e32 v[7:8], v8
	v_lshl_or_b32 v0, v0, 9, v13
	v_cndmask_b32_e32 v0, v5, v0, vcc
	v_lshrrev_b32_e32 v1, 16, v1
	v_and_or_b32 v5, v1, s11, v0
	v_mul_f64 v[0:1], v[7:8], s[2:3]
	v_and_b32_e32 v3, 0xffff, v3
	v_lshl_or_b32 v3, v5, 16, v3
	v_mov_b32_e32 v5, s4
	v_add_co_u32_e32 v7, vcc, s5, v9
	v_addc_co_u32_e32 v8, vcc, v10, v5, vcc
	v_and_or_b32 v0, v1, s6, v0
	v_cmp_ne_u32_e32 vcc, 0, v0
	global_store_dword v[7:8], v3, off
	v_cndmask_b32_e64 v0, 0, 1, vcc
	v_lshrrev_b32_e32 v3, 8, v1
	v_bfe_u32 v5, v1, 20, 11
	v_and_or_b32 v0, v3, s7, v0
	v_sub_u32_e32 v9, 0x3f1, v5
	v_or_b32_e32 v3, 0x1000, v0
	v_med3_i32 v9, v9, 0, 13
	v_lshrrev_b32_e32 v10, v9, v3
	v_lshlrev_b32_e32 v9, v9, v10
	v_mul_f16_sdwa v4, v131, v4 dst_sel:DWORD dst_unused:UNUSED_PAD src0_sel:WORD_1 src1_sel:DWORD
	v_cmp_ne_u32_e32 vcc, v9, v3
	v_fma_f16 v4, v131, v11, -v4
	v_cndmask_b32_e64 v3, 0, 1, vcc
	v_add_u32_e32 v5, 0xfffffc10, v5
	v_cvt_f32_f16_e32 v4, v4
	v_or_b32_e32 v3, v10, v3
	v_lshl_or_b32 v9, v5, 12, v0
	v_cmp_gt_i32_e32 vcc, 1, v5
	v_cndmask_b32_e32 v3, v9, v3, vcc
	v_and_b32_e32 v9, 7, v3
	v_cmp_lt_i32_e32 vcc, 5, v9
	v_cmp_eq_u32_e64 s[0:1], 3, v9
	v_lshrrev_b32_e32 v9, 2, v3
	v_cvt_f64_f32_e32 v[3:4], v4
	s_or_b64 vcc, s[0:1], vcc
	v_addc_co_u32_e32 v9, vcc, 0, v9, vcc
	v_mul_f64 v[3:4], v[3:4], s[2:3]
	v_cmp_gt_i32_e32 vcc, 31, v5
	v_cndmask_b32_e32 v9, v13, v9, vcc
	v_cmp_ne_u32_e32 vcc, 0, v0
	v_cndmask_b32_e64 v0, 0, 1, vcc
	v_lshl_or_b32 v0, v0, 9, v13
	v_cmp_eq_u32_e32 vcc, s10, v5
	v_cndmask_b32_e32 v0, v9, v0, vcc
	v_lshrrev_b32_e32 v1, 16, v1
	v_and_or_b32 v5, v1, s11, v0
	v_and_or_b32 v0, v4, s6, v3
	v_cmp_ne_u32_e32 vcc, 0, v0
	v_cndmask_b32_e64 v0, 0, 1, vcc
	v_lshrrev_b32_e32 v1, 8, v4
	v_bfe_u32 v3, v4, 20, 11
	v_and_or_b32 v0, v1, s7, v0
	v_sub_u32_e32 v9, 0x3f1, v3
	v_or_b32_e32 v1, 0x1000, v0
	v_med3_i32 v9, v9, 0, 13
	v_lshrrev_b32_e32 v10, v9, v1
	v_lshlrev_b32_e32 v9, v9, v10
	v_cmp_ne_u32_e32 vcc, v9, v1
	v_cndmask_b32_e64 v1, 0, 1, vcc
	v_add_u32_e32 v3, 0xfffffc10, v3
	v_or_b32_e32 v1, v10, v1
	v_lshl_or_b32 v9, v3, 12, v0
	v_cmp_gt_i32_e32 vcc, 1, v3
	v_cndmask_b32_e32 v1, v9, v1, vcc
	v_and_b32_e32 v9, 7, v1
	v_cmp_lt_i32_e32 vcc, 5, v9
	v_cmp_eq_u32_e64 s[0:1], 3, v9
	v_lshrrev_b32_e32 v9, 16, v2
	v_lshrrev_b32_e32 v1, 2, v1
	s_or_b64 vcc, s[0:1], vcc
	v_mul_f16_sdwa v10, v130, v9 dst_sel:DWORD dst_unused:UNUSED_PAD src0_sel:WORD_1 src1_sel:DWORD
	v_addc_co_u32_e32 v1, vcc, 0, v1, vcc
	v_fma_f16 v10, v130, v2, v10
	v_cmp_gt_i32_e32 vcc, 31, v3
	v_cvt_f32_f16_e32 v10, v10
	v_cndmask_b32_e32 v1, v13, v1, vcc
	v_cmp_ne_u32_e32 vcc, 0, v0
	v_cndmask_b32_e64 v0, 0, 1, vcc
	v_lshl_or_b32 v0, v0, 9, v13
	v_cmp_eq_u32_e32 vcc, s10, v3
	v_cndmask_b32_e32 v3, v1, v0, vcc
	v_cvt_f64_f32_e32 v[0:1], v10
	v_lshrrev_b32_e32 v4, 16, v4
	v_and_or_b32 v3, v4, s11, v3
	v_and_b32_e32 v4, 0xffff, v5
	v_mul_f64 v[0:1], v[0:1], s[2:3]
	v_lshl_or_b32 v5, v3, 16, v4
	v_mov_b32_e32 v4, s4
	v_add_co_u32_e32 v3, vcc, s5, v7
	v_addc_co_u32_e32 v4, vcc, v8, v4, vcc
	global_store_dword v[3:4], v5, off
	v_and_or_b32 v0, v1, s6, v0
	v_cmp_ne_u32_e32 vcc, 0, v0
	v_cndmask_b32_e64 v0, 0, 1, vcc
	v_lshrrev_b32_e32 v5, 8, v1
	v_bfe_u32 v7, v1, 20, 11
	v_and_or_b32 v0, v5, s7, v0
	v_sub_u32_e32 v8, 0x3f1, v7
	v_or_b32_e32 v5, 0x1000, v0
	v_med3_i32 v8, v8, 0, 13
	v_lshrrev_b32_e32 v10, v8, v5
	v_lshlrev_b32_e32 v8, v8, v10
	v_cmp_ne_u32_e32 vcc, v8, v5
	v_mul_f16_sdwa v2, v130, v2 dst_sel:DWORD dst_unused:UNUSED_PAD src0_sel:WORD_1 src1_sel:DWORD
	v_cndmask_b32_e64 v5, 0, 1, vcc
	v_fma_f16 v2, v130, v9, -v2
	v_or_b32_e32 v5, v10, v5
	v_add_u32_e32 v10, 0xfffffc10, v7
	v_cvt_f32_f16_e32 v2, v2
	v_lshl_or_b32 v7, v10, 12, v0
	v_cmp_gt_i32_e32 vcc, 1, v10
	v_cndmask_b32_e32 v5, v7, v5, vcc
	v_and_b32_e32 v7, 7, v5
	v_cmp_lt_i32_e32 vcc, 5, v7
	v_cmp_eq_u32_e64 s[0:1], 3, v7
	v_cvt_f64_f32_e32 v[7:8], v2
	v_lshrrev_b32_e32 v5, 2, v5
	s_or_b64 vcc, s[0:1], vcc
	v_addc_co_u32_e32 v2, vcc, 0, v5, vcc
	v_mul_f64 v[7:8], v[7:8], s[2:3]
	v_cmp_gt_i32_e32 vcc, 31, v10
	v_cndmask_b32_e32 v2, v13, v2, vcc
	v_cmp_ne_u32_e32 vcc, 0, v0
	v_cndmask_b32_e64 v0, 0, 1, vcc
	v_lshl_or_b32 v0, v0, 9, v13
	v_cmp_eq_u32_e32 vcc, s10, v10
	v_cndmask_b32_e32 v0, v2, v0, vcc
	v_lshrrev_b32_e32 v1, 16, v1
	v_and_or_b32 v2, v1, s11, v0
	v_and_or_b32 v0, v8, s6, v7
	v_cmp_ne_u32_e32 vcc, 0, v0
	v_cndmask_b32_e64 v0, 0, 1, vcc
	v_lshrrev_b32_e32 v1, 8, v8
	v_bfe_u32 v5, v8, 20, 11
	v_and_or_b32 v0, v1, s7, v0
	v_sub_u32_e32 v7, 0x3f1, v5
	v_or_b32_e32 v1, 0x1000, v0
	v_med3_i32 v7, v7, 0, 13
	v_lshrrev_b32_e32 v9, v7, v1
	v_lshlrev_b32_e32 v7, v7, v9
	v_cmp_ne_u32_e32 vcc, v7, v1
	v_cndmask_b32_e64 v1, 0, 1, vcc
	v_add_u32_e32 v5, 0xfffffc10, v5
	v_or_b32_e32 v1, v9, v1
	v_lshl_or_b32 v7, v5, 12, v0
	v_cmp_gt_i32_e32 vcc, 1, v5
	v_cndmask_b32_e32 v1, v7, v1, vcc
	v_and_b32_e32 v7, 7, v1
	v_cmp_lt_i32_e32 vcc, 5, v7
	v_cmp_eq_u32_e64 s[0:1], 3, v7
	v_lshrrev_b32_e32 v7, 16, v6
	v_lshrrev_b32_e32 v1, 2, v1
	s_or_b64 vcc, s[0:1], vcc
	v_mul_f16_sdwa v9, v128, v7 dst_sel:DWORD dst_unused:UNUSED_PAD src0_sel:WORD_1 src1_sel:DWORD
	v_addc_co_u32_e32 v1, vcc, 0, v1, vcc
	v_fma_f16 v9, v128, v6, v9
	v_cmp_gt_i32_e32 vcc, 31, v5
	v_cvt_f32_f16_e32 v9, v9
	v_cndmask_b32_e32 v1, v13, v1, vcc
	v_cmp_ne_u32_e32 vcc, 0, v0
	v_cndmask_b32_e64 v0, 0, 1, vcc
	v_lshl_or_b32 v0, v0, 9, v13
	v_cmp_eq_u32_e32 vcc, s10, v5
	v_cndmask_b32_e32 v5, v1, v0, vcc
	v_cvt_f64_f32_e32 v[0:1], v9
	v_lshrrev_b32_e32 v8, 16, v8
	v_and_or_b32 v5, v8, s11, v5
	v_and_b32_e32 v2, 0xffff, v2
	v_mul_f64 v[0:1], v[0:1], s[2:3]
	v_lshl_or_b32 v5, v5, 16, v2
	v_mov_b32_e32 v8, s4
	v_add_co_u32_e32 v2, vcc, s5, v3
	v_addc_co_u32_e32 v3, vcc, v4, v8, vcc
	global_store_dword v[2:3], v5, off
	v_and_or_b32 v0, v1, s6, v0
	v_cmp_ne_u32_e32 vcc, 0, v0
	v_cndmask_b32_e64 v0, 0, 1, vcc
	v_lshrrev_b32_e32 v4, 8, v1
	v_bfe_u32 v5, v1, 20, 11
	v_and_or_b32 v0, v4, s7, v0
	v_sub_u32_e32 v8, 0x3f1, v5
	v_or_b32_e32 v4, 0x1000, v0
	v_med3_i32 v8, v8, 0, 13
	v_lshrrev_b32_e32 v9, v8, v4
	v_lshlrev_b32_e32 v8, v8, v9
	v_mul_f16_sdwa v6, v128, v6 dst_sel:DWORD dst_unused:UNUSED_PAD src0_sel:WORD_1 src1_sel:DWORD
	v_cmp_ne_u32_e32 vcc, v8, v4
	v_fma_f16 v6, v128, v7, -v6
	v_cndmask_b32_e64 v4, 0, 1, vcc
	v_add_u32_e32 v8, 0xfffffc10, v5
	v_cvt_f32_f16_e32 v6, v6
	v_or_b32_e32 v4, v9, v4
	v_lshl_or_b32 v5, v8, 12, v0
	v_cmp_gt_i32_e32 vcc, 1, v8
	v_cndmask_b32_e32 v4, v5, v4, vcc
	v_and_b32_e32 v5, 7, v4
	v_cmp_lt_i32_e32 vcc, 5, v5
	v_cmp_eq_u32_e64 s[0:1], 3, v5
	v_lshrrev_b32_e32 v7, 2, v4
	v_cvt_f64_f32_e32 v[4:5], v6
	s_or_b64 vcc, s[0:1], vcc
	v_addc_co_u32_e32 v6, vcc, 0, v7, vcc
	v_mul_f64 v[4:5], v[4:5], s[2:3]
	v_cmp_gt_i32_e32 vcc, 31, v8
	v_cndmask_b32_e32 v6, v13, v6, vcc
	v_cmp_ne_u32_e32 vcc, 0, v0
	v_cndmask_b32_e64 v0, 0, 1, vcc
	v_lshl_or_b32 v0, v0, 9, v13
	v_cmp_eq_u32_e32 vcc, s10, v8
	v_cndmask_b32_e32 v0, v6, v0, vcc
	v_lshrrev_b32_e32 v1, 16, v1
	v_and_or_b32 v6, v1, s11, v0
	v_and_or_b32 v0, v5, s6, v4
	v_cmp_ne_u32_e32 vcc, 0, v0
	v_cndmask_b32_e64 v0, 0, 1, vcc
	v_lshrrev_b32_e32 v1, 8, v5
	v_bfe_u32 v4, v5, 20, 11
	v_and_or_b32 v0, v1, s7, v0
	v_sub_u32_e32 v7, 0x3f1, v4
	v_or_b32_e32 v1, 0x1000, v0
	v_med3_i32 v7, v7, 0, 13
	v_lshrrev_b32_e32 v8, v7, v1
	v_lshlrev_b32_e32 v7, v7, v8
	v_cmp_ne_u32_e32 vcc, v7, v1
	v_cndmask_b32_e64 v1, 0, 1, vcc
	v_add_u32_e32 v4, 0xfffffc10, v4
	v_or_b32_e32 v1, v8, v1
	v_lshl_or_b32 v7, v4, 12, v0
	v_cmp_gt_i32_e32 vcc, 1, v4
	v_cndmask_b32_e32 v1, v7, v1, vcc
	v_and_b32_e32 v7, 7, v1
	v_cmp_lt_i32_e32 vcc, 5, v7
	v_cmp_eq_u32_e64 s[0:1], 3, v7
	ds_read_b32 v7, v127 offset:2312
	v_lshrrev_b32_e32 v1, 2, v1
	s_or_b64 vcc, s[0:1], vcc
	v_addc_co_u32_e32 v1, vcc, 0, v1, vcc
	s_waitcnt lgkmcnt(0)
	v_lshrrev_b32_e32 v8, 16, v7
	v_mul_f16_sdwa v9, v129, v8 dst_sel:DWORD dst_unused:UNUSED_PAD src0_sel:WORD_1 src1_sel:DWORD
	v_fma_f16 v9, v129, v7, v9
	v_cmp_gt_i32_e32 vcc, 31, v4
	v_cvt_f32_f16_e32 v9, v9
	v_cndmask_b32_e32 v1, v13, v1, vcc
	v_cmp_ne_u32_e32 vcc, 0, v0
	v_cndmask_b32_e64 v0, 0, 1, vcc
	v_lshl_or_b32 v0, v0, 9, v13
	v_cmp_eq_u32_e32 vcc, s10, v4
	v_cndmask_b32_e32 v4, v1, v0, vcc
	v_cvt_f64_f32_e32 v[0:1], v9
	v_lshrrev_b32_e32 v5, 16, v5
	v_and_or_b32 v4, v5, s11, v4
	v_and_b32_e32 v5, 0xffff, v6
	v_mul_f64 v[0:1], v[0:1], s[2:3]
	v_lshl_or_b32 v4, v4, 16, v5
	v_mov_b32_e32 v5, s4
	v_add_co_u32_e32 v2, vcc, s5, v2
	v_addc_co_u32_e32 v3, vcc, v3, v5, vcc
	global_store_dword v[2:3], v4, off
	v_and_or_b32 v0, v1, s6, v0
	v_cmp_ne_u32_e32 vcc, 0, v0
	v_cndmask_b32_e64 v0, 0, 1, vcc
	v_lshrrev_b32_e32 v4, 8, v1
	v_bfe_u32 v5, v1, 20, 11
	v_and_or_b32 v0, v4, s7, v0
	v_sub_u32_e32 v6, 0x3f1, v5
	v_or_b32_e32 v4, 0x1000, v0
	v_med3_i32 v6, v6, 0, 13
	v_lshrrev_b32_e32 v9, v6, v4
	v_lshlrev_b32_e32 v6, v6, v9
	v_mul_f16_sdwa v7, v129, v7 dst_sel:DWORD dst_unused:UNUSED_PAD src0_sel:WORD_1 src1_sel:DWORD
	v_cmp_ne_u32_e32 vcc, v6, v4
	v_fma_f16 v7, v129, v8, -v7
	v_cndmask_b32_e64 v4, 0, 1, vcc
	v_add_u32_e32 v6, 0xfffffc10, v5
	v_cvt_f32_f16_e32 v7, v7
	v_or_b32_e32 v4, v9, v4
	v_lshl_or_b32 v5, v6, 12, v0
	v_cmp_gt_i32_e32 vcc, 1, v6
	v_cndmask_b32_e32 v4, v5, v4, vcc
	v_and_b32_e32 v5, 7, v4
	v_cmp_lt_i32_e32 vcc, 5, v5
	v_cmp_eq_u32_e64 s[0:1], 3, v5
	v_lshrrev_b32_e32 v8, 2, v4
	v_cvt_f64_f32_e32 v[4:5], v7
	s_or_b64 vcc, s[0:1], vcc
	v_addc_co_u32_e32 v7, vcc, 0, v8, vcc
	v_mul_f64 v[4:5], v[4:5], s[2:3]
	v_cmp_gt_i32_e32 vcc, 31, v6
	v_cndmask_b32_e32 v7, v13, v7, vcc
	v_cmp_ne_u32_e32 vcc, 0, v0
	v_cndmask_b32_e64 v0, 0, 1, vcc
	v_lshl_or_b32 v0, v0, 9, v13
	v_cmp_eq_u32_e32 vcc, s10, v6
	v_cndmask_b32_e32 v0, v7, v0, vcc
	v_lshrrev_b32_e32 v1, 16, v1
	v_and_or_b32 v0, v1, s11, v0
	v_and_or_b32 v1, v5, s6, v4
	v_cmp_ne_u32_e32 vcc, 0, v1
	v_cndmask_b32_e64 v1, 0, 1, vcc
	v_lshrrev_b32_e32 v4, 8, v5
	v_bfe_u32 v6, v5, 20, 11
	v_and_or_b32 v1, v4, s7, v1
	v_sub_u32_e32 v7, 0x3f1, v6
	v_or_b32_e32 v4, 0x1000, v1
	v_med3_i32 v7, v7, 0, 13
	v_lshrrev_b32_e32 v8, v7, v4
	v_lshlrev_b32_e32 v7, v7, v8
	v_cmp_ne_u32_e32 vcc, v7, v4
	v_cndmask_b32_e64 v4, 0, 1, vcc
	v_add_u32_e32 v6, 0xfffffc10, v6
	v_or_b32_e32 v4, v8, v4
	v_lshl_or_b32 v7, v6, 12, v1
	v_cmp_gt_i32_e32 vcc, 1, v6
	v_cndmask_b32_e32 v4, v7, v4, vcc
	v_and_b32_e32 v7, 7, v4
	v_cmp_lt_i32_e32 vcc, 5, v7
	v_cmp_eq_u32_e64 s[0:1], 3, v7
	v_lshrrev_b32_e32 v4, 2, v4
	s_or_b64 vcc, s[0:1], vcc
	v_addc_co_u32_e32 v4, vcc, 0, v4, vcc
	v_cmp_gt_i32_e32 vcc, 31, v6
	v_cndmask_b32_e32 v4, v13, v4, vcc
	v_cmp_ne_u32_e32 vcc, 0, v1
	v_cndmask_b32_e64 v1, 0, 1, vcc
	v_lshl_or_b32 v1, v1, 9, v13
	v_cmp_eq_u32_e32 vcc, s10, v6
	v_cndmask_b32_e32 v1, v4, v1, vcc
	v_lshrrev_b32_e32 v4, 16, v5
	v_and_or_b32 v1, v4, s11, v1
	v_and_b32_e32 v0, 0xffff, v0
	v_lshl_or_b32 v4, v1, 16, v0
	v_mov_b32_e32 v1, s4
	v_add_co_u32_e32 v0, vcc, s5, v2
	v_addc_co_u32_e32 v1, vcc, v3, v1, vcc
	global_store_dword v[0:1], v4, off
.LBB0_10:
	s_endpgm
	.section	.rodata,"a",@progbits
	.p2align	6, 0x0
	.amdhsa_kernel bluestein_single_fwd_len595_dim1_half_op_CI_CI
		.amdhsa_group_segment_fixed_size 7140
		.amdhsa_private_segment_fixed_size 60
		.amdhsa_kernarg_size 104
		.amdhsa_user_sgpr_count 6
		.amdhsa_user_sgpr_private_segment_buffer 1
		.amdhsa_user_sgpr_dispatch_ptr 0
		.amdhsa_user_sgpr_queue_ptr 0
		.amdhsa_user_sgpr_kernarg_segment_ptr 1
		.amdhsa_user_sgpr_dispatch_id 0
		.amdhsa_user_sgpr_flat_scratch_init 0
		.amdhsa_user_sgpr_private_segment_size 0
		.amdhsa_uses_dynamic_stack 0
		.amdhsa_system_sgpr_private_segment_wavefront_offset 1
		.amdhsa_system_sgpr_workgroup_id_x 1
		.amdhsa_system_sgpr_workgroup_id_y 0
		.amdhsa_system_sgpr_workgroup_id_z 0
		.amdhsa_system_sgpr_workgroup_info 0
		.amdhsa_system_vgpr_workitem_id 0
		.amdhsa_next_free_vgpr 256
		.amdhsa_next_free_sgpr 40
		.amdhsa_reserve_vcc 1
		.amdhsa_reserve_flat_scratch 0
		.amdhsa_float_round_mode_32 0
		.amdhsa_float_round_mode_16_64 0
		.amdhsa_float_denorm_mode_32 3
		.amdhsa_float_denorm_mode_16_64 3
		.amdhsa_dx10_clamp 1
		.amdhsa_ieee_mode 1
		.amdhsa_fp16_overflow 0
		.amdhsa_exception_fp_ieee_invalid_op 0
		.amdhsa_exception_fp_denorm_src 0
		.amdhsa_exception_fp_ieee_div_zero 0
		.amdhsa_exception_fp_ieee_overflow 0
		.amdhsa_exception_fp_ieee_underflow 0
		.amdhsa_exception_fp_ieee_inexact 0
		.amdhsa_exception_int_div_zero 0
	.end_amdhsa_kernel
	.text
.Lfunc_end0:
	.size	bluestein_single_fwd_len595_dim1_half_op_CI_CI, .Lfunc_end0-bluestein_single_fwd_len595_dim1_half_op_CI_CI
                                        ; -- End function
	.section	.AMDGPU.csdata,"",@progbits
; Kernel info:
; codeLenInByte = 68740
; NumSgprs: 44
; NumVgprs: 256
; ScratchSize: 60
; MemoryBound: 0
; FloatMode: 240
; IeeeMode: 1
; LDSByteSize: 7140 bytes/workgroup (compile time only)
; SGPRBlocks: 5
; VGPRBlocks: 63
; NumSGPRsForWavesPerEU: 44
; NumVGPRsForWavesPerEU: 256
; Occupancy: 1
; WaveLimiterHint : 1
; COMPUTE_PGM_RSRC2:SCRATCH_EN: 1
; COMPUTE_PGM_RSRC2:USER_SGPR: 6
; COMPUTE_PGM_RSRC2:TRAP_HANDLER: 0
; COMPUTE_PGM_RSRC2:TGID_X_EN: 1
; COMPUTE_PGM_RSRC2:TGID_Y_EN: 0
; COMPUTE_PGM_RSRC2:TGID_Z_EN: 0
; COMPUTE_PGM_RSRC2:TIDIG_COMP_CNT: 0
	.type	__hip_cuid_9506ff1a77407b3a,@object ; @__hip_cuid_9506ff1a77407b3a
	.section	.bss,"aw",@nobits
	.globl	__hip_cuid_9506ff1a77407b3a
__hip_cuid_9506ff1a77407b3a:
	.byte	0                               ; 0x0
	.size	__hip_cuid_9506ff1a77407b3a, 1

	.ident	"AMD clang version 19.0.0git (https://github.com/RadeonOpenCompute/llvm-project roc-6.4.0 25133 c7fe45cf4b819c5991fe208aaa96edf142730f1d)"
	.section	".note.GNU-stack","",@progbits
	.addrsig
	.addrsig_sym __hip_cuid_9506ff1a77407b3a
	.amdgpu_metadata
---
amdhsa.kernels:
  - .args:
      - .actual_access:  read_only
        .address_space:  global
        .offset:         0
        .size:           8
        .value_kind:     global_buffer
      - .actual_access:  read_only
        .address_space:  global
        .offset:         8
        .size:           8
        .value_kind:     global_buffer
      - .actual_access:  read_only
        .address_space:  global
        .offset:         16
        .size:           8
        .value_kind:     global_buffer
      - .actual_access:  read_only
        .address_space:  global
        .offset:         24
        .size:           8
        .value_kind:     global_buffer
      - .actual_access:  read_only
        .address_space:  global
        .offset:         32
        .size:           8
        .value_kind:     global_buffer
      - .offset:         40
        .size:           8
        .value_kind:     by_value
      - .address_space:  global
        .offset:         48
        .size:           8
        .value_kind:     global_buffer
      - .address_space:  global
        .offset:         56
        .size:           8
        .value_kind:     global_buffer
      - .address_space:  global
        .offset:         64
        .size:           8
        .value_kind:     global_buffer
      - .address_space:  global
        .offset:         72
        .size:           8
        .value_kind:     global_buffer
      - .offset:         80
        .size:           4
        .value_kind:     by_value
      - .address_space:  global
        .offset:         88
        .size:           8
        .value_kind:     global_buffer
      - .address_space:  global
        .offset:         96
        .size:           8
        .value_kind:     global_buffer
    .group_segment_fixed_size: 7140
    .kernarg_segment_align: 8
    .kernarg_segment_size: 104
    .language:       OpenCL C
    .language_version:
      - 2
      - 0
    .max_flat_workgroup_size: 51
    .name:           bluestein_single_fwd_len595_dim1_half_op_CI_CI
    .private_segment_fixed_size: 60
    .sgpr_count:     44
    .sgpr_spill_count: 0
    .symbol:         bluestein_single_fwd_len595_dim1_half_op_CI_CI.kd
    .uniform_work_group_size: 1
    .uses_dynamic_stack: false
    .vgpr_count:     256
    .vgpr_spill_count: 14
    .wavefront_size: 64
amdhsa.target:   amdgcn-amd-amdhsa--gfx906
amdhsa.version:
  - 1
  - 2
...

	.end_amdgpu_metadata
